;; amdgpu-corpus repo=ROCm/rocFFT kind=compiled arch=gfx1030 opt=O3
	.text
	.amdgcn_target "amdgcn-amd-amdhsa--gfx1030"
	.amdhsa_code_object_version 6
	.protected	bluestein_single_fwd_len1470_dim1_half_op_CI_CI ; -- Begin function bluestein_single_fwd_len1470_dim1_half_op_CI_CI
	.globl	bluestein_single_fwd_len1470_dim1_half_op_CI_CI
	.p2align	8
	.type	bluestein_single_fwd_len1470_dim1_half_op_CI_CI,@function
bluestein_single_fwd_len1470_dim1_half_op_CI_CI: ; @bluestein_single_fwd_len1470_dim1_half_op_CI_CI
; %bb.0:
	s_load_dwordx4 s[8:11], s[4:5], 0x28
	v_mul_u32_u24_e32 v1, 0x139, v0
	v_mov_b32_e32 v21, 0
	s_mov_b32 s0, exec_lo
	v_lshrrev_b32_e32 v1, 16, v1
	v_add_nc_u32_e32 v20, s6, v1
	s_waitcnt lgkmcnt(0)
	v_cmpx_gt_u64_e64 s[8:9], v[20:21]
	s_cbranch_execz .LBB0_31
; %bb.1:
	s_load_dwordx4 s[0:3], s[4:5], 0x18
	v_mul_lo_u16 v1, 0xd2, v1
	v_sub_nc_u16 v7, v0, v1
	v_and_b32_e32 v38, 0xffff, v7
	v_lshlrev_b32_e32 v33, 2, v38
	s_waitcnt lgkmcnt(0)
	s_load_dwordx4 s[12:15], s[0:1], 0x0
	s_load_dwordx2 s[0:1], s[4:5], 0x0
	s_waitcnt lgkmcnt(0)
	v_mad_u64_u32 v[0:1], null, s14, v20, 0
	v_mad_u64_u32 v[2:3], null, s12, v38, 0
	v_add_co_u32 v29, s6, s0, v33
	v_add_co_ci_u32_e64 v30, null, s1, 0, s6
	s_mul_i32 s7, s13, 0x2df
	v_add_co_u32 v16, vcc_lo, 0x800, v29
	v_mad_u64_u32 v[4:5], null, s15, v20, v[1:2]
	v_add_co_ci_u32_e32 v17, vcc_lo, 0, v30, vcc_lo
	s_mul_hi_u32 s9, s12, 0x2df
	s_mul_i32 s6, s12, 0x2df
	s_mul_i32 s14, s13, 0xfffffdf3
	s_add_i32 s7, s9, s7
	v_mad_u64_u32 v[5:6], null, s13, v38, v[3:4]
	v_mov_b32_e32 v1, v4
	s_mul_hi_u32 s13, s12, 0xfffffdf3
	s_mul_i32 s8, s12, 0xfffffdf3
	s_sub_i32 s9, s13, s12
	s_lshl_b64 s[12:13], s[6:7], 2
	v_lshlrev_b64 v[0:1], 2, v[0:1]
	v_mov_b32_e32 v3, v5
	s_add_i32 s9, s9, s14
	global_load_dword v40, v33, s[0:1]
	s_lshl_b64 s[14:15], s[8:9], 2
	global_load_dword v39, v[16:17], off offset:892
	v_lshlrev_b64 v[2:3], 2, v[2:3]
	v_add_co_u32 v0, vcc_lo, s10, v0
	v_add_co_ci_u32_e32 v1, vcc_lo, s11, v1, vcc_lo
	s_load_dwordx2 s[6:7], s[4:5], 0x38
	v_add_co_u32 v0, vcc_lo, v0, v2
	v_add_co_ci_u32_e32 v1, vcc_lo, v1, v3, vcc_lo
	v_add_co_u32 v2, vcc_lo, v0, s12
	v_add_co_ci_u32_e32 v3, vcc_lo, s13, v1, vcc_lo
	s_clause 0x1
	global_load_dword v6, v[0:1], off
	global_load_dword v8, v[2:3], off
	v_add_co_u32 v0, vcc_lo, v2, s14
	v_add_co_ci_u32_e32 v1, vcc_lo, s15, v3, vcc_lo
	v_add_co_u32 v4, vcc_lo, v0, s12
	v_add_co_ci_u32_e32 v5, vcc_lo, s13, v1, vcc_lo
	;; [unrolled: 2-line block ×3, first 2 shown]
	global_load_dword v9, v[0:1], off
	s_clause 0x1
	global_load_dword v37, v33, s[0:1] offset:840
	global_load_dword v36, v[16:17], off offset:1732
	s_clause 0x1
	global_load_dword v4, v[4:5], off
	global_load_dword v5, v[2:3], off
	v_add_co_u32 v0, vcc_lo, v2, s12
	v_add_co_ci_u32_e32 v1, vcc_lo, s13, v3, vcc_lo
	v_add_co_u32 v18, vcc_lo, 0x1000, v29
	v_add_co_ci_u32_e32 v19, vcc_lo, 0, v30, vcc_lo
	global_load_dword v2, v[0:1], off
	s_clause 0x1
	global_load_dword v35, v33, s[0:1] offset:1680
	global_load_dword v34, v[18:19], off offset:524
	s_load_dwordx4 s[8:11], s[2:3], 0x0
	v_cmp_gt_u16_e32 vcc_lo, 0x69, v7
	s_waitcnt vmcnt(9)
	v_lshrrev_b32_e32 v3, 16, v6
	v_mul_f16_sdwa v10, v40, v6 dst_sel:DWORD dst_unused:UNUSED_PAD src0_sel:WORD_1 src1_sel:DWORD
	s_waitcnt vmcnt(8)
	v_lshrrev_b32_e32 v12, 16, v8
	v_mul_f16_sdwa v13, v39, v8 dst_sel:DWORD dst_unused:UNUSED_PAD src0_sel:WORD_1 src1_sel:DWORD
	v_mul_f16_sdwa v11, v40, v3 dst_sel:DWORD dst_unused:UNUSED_PAD src0_sel:WORD_1 src1_sel:DWORD
	v_fma_f16 v3, v40, v3, -v10
	v_mul_f16_sdwa v10, v39, v12 dst_sel:DWORD dst_unused:UNUSED_PAD src0_sel:WORD_1 src1_sel:DWORD
	v_fma_f16 v12, v39, v12, -v13
	v_fmac_f16_e32 v11, v40, v6
	v_fmac_f16_e32 v10, v39, v8
	s_waitcnt vmcnt(7)
	v_lshrrev_b32_e32 v6, 16, v9
	s_waitcnt vmcnt(6)
	v_mul_f16_sdwa v13, v37, v9 dst_sel:DWORD dst_unused:UNUSED_PAD src0_sel:WORD_1 src1_sel:DWORD
	v_pack_b32_f16 v3, v11, v3
	s_waitcnt vmcnt(4)
	v_lshrrev_b32_e32 v8, 16, v4
	v_mul_f16_sdwa v11, v37, v6 dst_sel:DWORD dst_unused:UNUSED_PAD src0_sel:WORD_1 src1_sel:DWORD
	v_fma_f16 v6, v37, v6, -v13
	v_mul_f16_sdwa v13, v36, v4 dst_sel:DWORD dst_unused:UNUSED_PAD src0_sel:WORD_1 src1_sel:DWORD
	v_mul_f16_sdwa v14, v36, v8 dst_sel:DWORD dst_unused:UNUSED_PAD src0_sel:WORD_1 src1_sel:DWORD
	v_fmac_f16_e32 v11, v37, v9
	s_waitcnt vmcnt(3)
	v_lshrrev_b32_e32 v9, 16, v5
	s_waitcnt vmcnt(2)
	v_lshrrev_b32_e32 v15, 16, v2
	v_fma_f16 v8, v36, v8, -v13
	s_waitcnt vmcnt(1)
	v_mul_f16_sdwa v13, v35, v5 dst_sel:DWORD dst_unused:UNUSED_PAD src0_sel:WORD_1 src1_sel:DWORD
	s_waitcnt vmcnt(0)
	v_mul_f16_sdwa v22, v34, v2 dst_sel:DWORD dst_unused:UNUSED_PAD src0_sel:WORD_1 src1_sel:DWORD
	v_mul_f16_sdwa v21, v35, v9 dst_sel:DWORD dst_unused:UNUSED_PAD src0_sel:WORD_1 src1_sel:DWORD
	;; [unrolled: 1-line block ×3, first 2 shown]
	v_fmac_f16_e32 v14, v36, v4
	v_fma_f16 v4, v35, v9, -v13
	v_pack_b32_f16 v6, v11, v6
	v_fmac_f16_e32 v21, v35, v5
	v_fma_f16 v5, v34, v15, -v22
	v_fmac_f16_e32 v23, v34, v2
	v_pack_b32_f16 v2, v10, v12
	v_pack_b32_f16 v8, v14, v8
	v_pack_b32_f16 v4, v21, v4
	v_add_nc_u32_e32 v9, 0xe80, v33
	v_pack_b32_f16 v5, v23, v5
	ds_write_b32 v33, v2 offset:2940
	ds_write2_b32 v33, v3, v6 offset1:210
	ds_write_b32 v33, v4 offset:1680
	ds_write2_b32 v9, v8, v5 offset0:17 offset1:227
	s_and_saveexec_b32 s1, vcc_lo
	s_cbranch_execz .LBB0_3
; %bb.2:
	v_add_co_u32 v0, s0, v0, s14
	v_add_co_ci_u32_e64 v1, s0, s15, v1, s0
	v_add_co_u32 v2, s0, v0, s12
	v_add_co_ci_u32_e64 v3, s0, s13, v1, s0
	global_load_dword v0, v[0:1], off
	global_load_dword v1, v[2:3], off
	s_clause 0x1
	global_load_dword v2, v[16:17], off offset:472
	global_load_dword v3, v[18:19], off offset:1364
	s_waitcnt vmcnt(3)
	v_lshrrev_b32_e32 v4, 16, v0
	s_waitcnt vmcnt(2)
	v_lshrrev_b32_e32 v5, 16, v1
	s_waitcnt vmcnt(1)
	v_mul_f16_sdwa v6, v2, v0 dst_sel:DWORD dst_unused:UNUSED_PAD src0_sel:WORD_1 src1_sel:DWORD
	s_waitcnt vmcnt(0)
	v_mul_f16_sdwa v9, v3, v1 dst_sel:DWORD dst_unused:UNUSED_PAD src0_sel:WORD_1 src1_sel:DWORD
	v_mul_f16_sdwa v7, v2, v4 dst_sel:DWORD dst_unused:UNUSED_PAD src0_sel:WORD_1 src1_sel:DWORD
	;; [unrolled: 1-line block ×3, first 2 shown]
	v_fma_f16 v4, v2, v4, -v6
	v_fmac_f16_e32 v7, v2, v0
	v_fmac_f16_e32 v8, v3, v1
	v_fma_f16 v0, v3, v5, -v9
	v_pack_b32_f16 v1, v7, v4
	v_pack_b32_f16 v0, v8, v0
	ds_write_b32 v33, v1 offset:2520
	ds_write_b32 v33, v0 offset:5460
.LBB0_3:
	s_or_b32 exec_lo, exec_lo, s1
	v_add_nc_u32_e32 v0, 0xb00, v33
	s_waitcnt lgkmcnt(0)
	s_barrier
	buffer_gl0_inv
	ds_read2_b32 v[2:3], v33 offset1:210
	ds_read2_b32 v[4:5], v0 offset0:31 offset1:241
	ds_read_b32 v7, v33 offset:1680
	ds_read_b32 v0, v33 offset:4620
                                        ; implicit-def: $vgpr8
                                        ; implicit-def: $vgpr1
	s_and_saveexec_b32 s0, vcc_lo
	s_cbranch_execz .LBB0_5
; %bb.4:
	ds_read_b32 v8, v33 offset:2520
	ds_read_b32 v1, v33 offset:5460
.LBB0_5:
	s_or_b32 exec_lo, exec_lo, s0
	s_load_dwordx2 s[2:3], s[4:5], 0x8
	v_add_co_u32 v6, null, 0xd2, v38
	v_add_co_u32 v10, null, 0x1a4, v38
	;; [unrolled: 1-line block ×3, first 2 shown]
	s_waitcnt lgkmcnt(0)
	v_pk_add_f16 v9, v2, v4 neg_lo:[0,1] neg_hi:[0,1]
	v_pk_add_f16 v1, v8, v1 neg_lo:[0,1] neg_hi:[0,1]
	;; [unrolled: 1-line block ×3, first 2 shown]
	v_lshlrev_b16 v5, 1, v38
	v_mov_b32_e32 v11, 2
	v_pk_add_f16 v12, v7, v0 neg_lo:[0,1] neg_hi:[0,1]
	v_pk_fma_f16 v0, v8, 2.0, v1 op_sel_hi:[1,0,1] neg_lo:[0,0,1] neg_hi:[0,0,1]
	v_pk_fma_f16 v8, v2, 2.0, v9 op_sel_hi:[1,0,1] neg_lo:[0,0,1] neg_hi:[0,0,1]
	v_lshlrev_b32_e32 v46, 3, v6
	v_lshlrev_b32_sdwa v31, v11, v5 dst_sel:DWORD dst_unused:UNUSED_PAD src0_sel:DWORD src1_sel:WORD_0
	v_lshlrev_b32_e32 v47, 3, v10
	v_lshlrev_b32_e32 v32, 3, v13
	v_pk_fma_f16 v3, v3, 2.0, v4 op_sel_hi:[1,0,1] neg_lo:[0,0,1] neg_hi:[0,0,1]
	v_pk_fma_f16 v11, v7, 2.0, v12 op_sel_hi:[1,0,1] neg_lo:[0,0,1] neg_hi:[0,0,1]
	s_barrier
	buffer_gl0_inv
	ds_write_b64 v31, v[8:9]
	ds_write_b64 v46, v[3:4]
	;; [unrolled: 1-line block ×3, first 2 shown]
	s_and_saveexec_b32 s0, vcc_lo
	s_cbranch_execz .LBB0_7
; %bb.6:
	ds_write_b64 v32, v[0:1]
.LBB0_7:
	s_or_b32 exec_lo, exec_lo, s0
	v_add_nc_u32_e32 v2, 0x700, v33
	v_add_nc_u32_e32 v3, 0xf00, v33
	s_waitcnt lgkmcnt(0)
	s_barrier
	buffer_gl0_inv
	ds_read2_b32 v[7:8], v33 offset1:210
	ds_read2_b32 v[4:5], v2 offset0:42 offset1:252
	ds_read2_b32 v[2:3], v3 offset0:20 offset1:230
	v_cmp_gt_u16_e64 s0, 0x46, v38
                                        ; implicit-def: $vgpr11
                                        ; implicit-def: $vgpr13
	s_and_saveexec_b32 s1, s0
	s_cbranch_execz .LBB0_9
; %bb.8:
	ds_read_b32 v11, v33 offset:5600
	ds_read_b32 v0, v33 offset:1680
	;; [unrolled: 1-line block ×3, first 2 shown]
	s_waitcnt lgkmcnt(2)
	v_lshrrev_b32_e32 v13, 16, v11
.LBB0_9:
	s_or_b32 exec_lo, exec_lo, s1
	v_and_b32_e32 v41, 1, v38
	v_lshrrev_b32_e32 v12, 1, v38
	v_lshrrev_b32_e32 v23, 1, v6
	s_waitcnt lgkmcnt(1)
	v_lshrrev_b32_e32 v14, 16, v4
	s_waitcnt lgkmcnt(0)
	v_lshrrev_b32_e32 v15, 16, v2
	v_lshlrev_b32_e32 v9, 3, v41
	v_mul_u32_u24_e32 v27, 6, v12
	v_mul_u32_u24_e32 v23, 6, v23
	v_lshrrev_b32_e32 v42, 1, v10
	v_lshrrev_b32_e32 v24, 16, v5
	global_load_dwordx2 v[21:22], v9, s[2:3]
	v_or_b32_e32 v10, v27, v41
	v_or_b32_e32 v23, v23, v41
	v_lshrrev_b32_e32 v26, 16, v3
	v_lshrrev_b32_e32 v28, 16, v1
	;; [unrolled: 1-line block ×3, first 2 shown]
	v_lshlrev_b32_e32 v45, 2, v10
	v_lshlrev_b32_e32 v44, 2, v23
	v_lshrrev_b32_e32 v9, 16, v8
	v_lshrrev_b32_e32 v12, 16, v0
	s_waitcnt vmcnt(0)
	s_barrier
	buffer_gl0_inv
	v_mul_f16_sdwa v10, v14, v21 dst_sel:DWORD dst_unused:UNUSED_PAD src0_sel:DWORD src1_sel:WORD_1
	v_mul_f16_sdwa v23, v4, v21 dst_sel:DWORD dst_unused:UNUSED_PAD src0_sel:DWORD src1_sel:WORD_1
	v_mul_f16_sdwa v27, v15, v22 dst_sel:DWORD dst_unused:UNUSED_PAD src0_sel:DWORD src1_sel:WORD_1
	v_mul_f16_sdwa v43, v2, v22 dst_sel:DWORD dst_unused:UNUSED_PAD src0_sel:DWORD src1_sel:WORD_1
	v_mul_f16_sdwa v48, v24, v21 dst_sel:DWORD dst_unused:UNUSED_PAD src0_sel:DWORD src1_sel:WORD_1
	v_mul_f16_sdwa v49, v5, v21 dst_sel:DWORD dst_unused:UNUSED_PAD src0_sel:DWORD src1_sel:WORD_1
	v_mul_f16_sdwa v50, v26, v22 dst_sel:DWORD dst_unused:UNUSED_PAD src0_sel:DWORD src1_sel:WORD_1
	v_mul_f16_sdwa v51, v3, v22 dst_sel:DWORD dst_unused:UNUSED_PAD src0_sel:DWORD src1_sel:WORD_1
	v_mul_f16_sdwa v52, v28, v21 dst_sel:DWORD dst_unused:UNUSED_PAD src0_sel:DWORD src1_sel:WORD_1
	v_mul_f16_sdwa v53, v1, v21 dst_sel:DWORD dst_unused:UNUSED_PAD src0_sel:DWORD src1_sel:WORD_1
	v_mul_f16_sdwa v54, v13, v22 dst_sel:DWORD dst_unused:UNUSED_PAD src0_sel:DWORD src1_sel:WORD_1
	v_mul_f16_sdwa v55, v11, v22 dst_sel:DWORD dst_unused:UNUSED_PAD src0_sel:DWORD src1_sel:WORD_1
	v_fma_f16 v4, v4, v21, -v10
	v_fmac_f16_e32 v23, v14, v21
	v_fma_f16 v2, v2, v22, -v27
	v_fmac_f16_e32 v43, v15, v22
	;; [unrolled: 2-line block ×6, first 2 shown]
	v_add_f16_e32 v13, v4, v2
	v_sub_f16_e32 v15, v23, v43
	v_add_f16_e32 v14, v25, v23
	v_add_f16_e32 v23, v23, v43
	;; [unrolled: 1-line block ×5, first 2 shown]
	v_sub_f16_e32 v4, v4, v2
	v_sub_f16_e32 v27, v49, v51
	v_add_f16_e32 v28, v9, v49
	v_add_f16_e32 v49, v0, v1
	;; [unrolled: 1-line block ×3, first 2 shown]
	v_sub_f16_e32 v52, v53, v55
	v_add_f16_e32 v54, v12, v53
	v_add_f16_e32 v53, v53, v55
	v_fma_f16 v7, -0.5, v13, v7
	v_fmac_f16_e32 v25, -0.5, v23
	v_add_f16_e32 v24, v8, v5
	v_sub_f16_e32 v5, v5, v3
	v_fmac_f16_e32 v8, -0.5, v26
	v_fmac_f16_e32 v9, -0.5, v48
	v_sub_f16_e32 v1, v1, v10
	v_add_f16_e32 v2, v11, v2
	v_add_f16_e32 v11, v14, v43
	;; [unrolled: 1-line block ×3, first 2 shown]
	v_fma_f16 v14, -0.5, v50, v0
	v_fmac_f16_e32 v12, -0.5, v53
	v_fmamk_f16 v0, v15, 0x3aee, v7
	v_fmamk_f16 v10, v4, 0xbaee, v25
	v_fmac_f16_e32 v7, 0xbaee, v15
	v_fmac_f16_e32 v25, 0x3aee, v4
	v_add_f16_e32 v3, v24, v3
	v_add_f16_e32 v26, v28, v51
	v_fmamk_f16 v4, v27, 0x3aee, v8
	v_fmac_f16_e32 v8, 0xbaee, v27
	v_fmamk_f16 v27, v5, 0xbaee, v9
	v_fmac_f16_e32 v9, 0x3aee, v5
	v_add_f16_e32 v23, v54, v55
	v_fmamk_f16 v15, v52, 0x3aee, v14
	v_fmac_f16_e32 v14, 0xbaee, v52
	v_fmamk_f16 v24, v1, 0xbaee, v12
	v_pack_b32_f16 v2, v2, v11
	v_pack_b32_f16 v0, v0, v10
	v_fmac_f16_e32 v12, 0x3aee, v1
	v_pack_b32_f16 v5, v7, v25
	v_pack_b32_f16 v3, v3, v26
	;; [unrolled: 1-line block ×4, first 2 shown]
	ds_write2_b32 v45, v2, v0 offset1:2
	ds_write_b32 v45, v5 offset:16
	ds_write2_b32 v44, v3, v4 offset1:2
	ds_write_b32 v44, v7 offset:16
	s_and_saveexec_b32 s1, s0
	s_cbranch_execz .LBB0_11
; %bb.10:
	v_mul_u32_u24_e32 v0, 6, v42
	v_perm_b32 v1, v23, v13, 0x5040100
	v_perm_b32 v2, v24, v15, 0x5040100
	;; [unrolled: 1-line block ×3, first 2 shown]
	v_or_b32_e32 v0, v0, v41
	v_lshlrev_b32_e32 v0, 2, v0
	ds_write2_b32 v0, v1, v2 offset1:2
	ds_write_b32 v0, v3 offset:16
.LBB0_11:
	s_or_b32 exec_lo, exec_lo, s1
	s_waitcnt lgkmcnt(0)
	s_barrier
	buffer_gl0_inv
	ds_read_b32 v11, v33
	ds_read_b32 v28, v33 offset:1176
	ds_read_b32 v27, v33 offset:2352
	ds_read_b32 v26, v33 offset:3528
	ds_read_b32 v25, v33 offset:4704
	v_cmp_gt_u16_e64 s1, 0x54, v38
                                        ; implicit-def: $vgpr49
                                        ; implicit-def: $vgpr50
	s_and_saveexec_b32 s4, s1
	s_cbranch_execz .LBB0_13
; %bb.12:
	ds_read_b32 v8, v33 offset:840
	ds_read_b32 v13, v33 offset:2016
	;; [unrolled: 1-line block ×5, first 2 shown]
	s_waitcnt lgkmcnt(4)
	v_lshrrev_b32_e32 v9, 16, v8
	s_waitcnt lgkmcnt(3)
	v_lshrrev_b32_e32 v23, 16, v13
	;; [unrolled: 2-line block ×5, first 2 shown]
.LBB0_13:
	s_or_b32 exec_lo, exec_lo, s4
	v_and_b32_e32 v10, 0xff, v38
	v_mov_b32_e32 v1, 0xaaab
	v_mov_b32_e32 v53, 30
	s_waitcnt lgkmcnt(3)
	v_lshrrev_b32_e32 v54, 16, v28
	s_waitcnt lgkmcnt(2)
	v_lshrrev_b32_e32 v55, 16, v27
	v_mul_lo_u16 v0, 0xab, v10
	s_waitcnt lgkmcnt(1)
	v_lshrrev_b32_e32 v56, 16, v26
	s_waitcnt lgkmcnt(0)
	v_lshrrev_b32_e32 v57, 16, v25
	v_lshrrev_b32_e32 v61, 16, v11
	v_lshrrev_b16 v43, 10, v0
	v_mul_u32_u24_sdwa v0, v6, v1 dst_sel:DWORD dst_unused:UNUSED_PAD src0_sel:WORD_0 src1_sel:DWORD
	v_mul_lo_u16 v1, v43, 6
	v_lshrrev_b32_e32 v48, 18, v0
	v_mul_u32_u24_sdwa v53, v43, v53 dst_sel:DWORD dst_unused:UNUSED_PAD src0_sel:WORD_0 src1_sel:DWORD
	v_sub_nc_u16 v0, v38, v1
	v_mul_lo_u16 v1, v48, 6
	v_and_b32_e32 v51, 0xff, v0
	v_sub_nc_u16 v52, v6, v1
	v_lshlrev_b32_e32 v0, 4, v51
	v_lshlrev_b16 v1, 4, v52
	v_mad_u16 v43, v48, 30, v52
	v_add_lshl_u32 v48, v53, v51, 2
	global_load_dwordx4 v[4:7], v0, s[2:3] offset:16
	v_and_b32_e32 v0, 0xffff, v1
	v_add_co_u32 v0, s4, s2, v0
	v_add_co_ci_u32_e64 v1, null, s3, 0, s4
	global_load_dwordx4 v[0:3], v[0:1], off offset:16
	s_waitcnt vmcnt(0)
	s_barrier
	buffer_gl0_inv
	v_mul_f16_sdwa v51, v54, v4 dst_sel:DWORD dst_unused:UNUSED_PAD src0_sel:DWORD src1_sel:WORD_1
	v_mul_f16_sdwa v52, v28, v4 dst_sel:DWORD dst_unused:UNUSED_PAD src0_sel:DWORD src1_sel:WORD_1
	;; [unrolled: 1-line block ×8, first 2 shown]
	v_fma_f16 v51, v28, v4, -v51
	v_fmac_f16_e32 v52, v54, v4
	v_fma_f16 v53, v27, v5, -v53
	v_fmac_f16_e32 v58, v55, v5
	;; [unrolled: 2-line block ×4, first 2 shown]
	v_mul_f16_sdwa v56, v23, v0 dst_sel:DWORD dst_unused:UNUSED_PAD src0_sel:DWORD src1_sel:WORD_1
	v_mul_f16_sdwa v28, v13, v0 dst_sel:DWORD dst_unused:UNUSED_PAD src0_sel:DWORD src1_sel:WORD_1
	;; [unrolled: 1-line block ×8, first 2 shown]
	v_fma_f16 v56, v13, v0, -v56
	v_fmac_f16_e32 v28, v23, v0
	v_fma_f16 v15, v15, v1, -v57
	v_fmac_f16_e32 v27, v24, v1
	;; [unrolled: 2-line block ×4, first 2 shown]
	v_add_f16_e32 v14, v11, v51
	v_add_f16_e32 v23, v53, v54
	v_sub_f16_e32 v50, v52, v63
	v_sub_f16_e32 v24, v51, v53
	;; [unrolled: 1-line block ×3, first 2 shown]
	v_add_f16_e32 v57, v51, v55
	v_add_f16_e32 v65, v61, v52
	;; [unrolled: 1-line block ×3, first 2 shown]
	v_sub_f16_e32 v68, v52, v58
	v_sub_f16_e32 v69, v63, v60
	v_add_f16_e32 v70, v52, v63
	v_sub_f16_e32 v52, v58, v52
	v_sub_f16_e32 v71, v60, v63
	;; [unrolled: 1-line block ×7, first 2 shown]
	v_add_f16_e32 v53, v14, v53
	v_fma_f16 v72, -0.5, v23, v11
	v_add_f16_e32 v73, v24, v49
	v_fmac_f16_e32 v11, -0.5, v57
	v_add_f16_e32 v49, v65, v58
	v_fma_f16 v65, -0.5, v66, v61
	v_add_f16_e32 v66, v68, v69
	v_fmac_f16_e32 v61, -0.5, v70
	v_add_f16_e32 v68, v52, v71
	v_add_f16_e32 v52, v15, v13
	;; [unrolled: 1-line block ×6, first 2 shown]
	v_sub_f16_e32 v24, v28, v25
	v_sub_f16_e32 v14, v27, v26
	;; [unrolled: 1-line block ×8, first 2 shown]
	v_add_f16_e32 v54, v53, v54
	v_fmamk_f16 v81, v50, 0x3b9c, v72
	v_fmamk_f16 v82, v62, 0xbb9c, v11
	v_fmac_f16_e32 v11, 0x3b9c, v62
	v_add_f16_e32 v83, v49, v60
	v_fmamk_f16 v84, v51, 0xbb9c, v65
	v_fmamk_f16 v85, v67, 0x3b9c, v61
	v_fmac_f16_e32 v61, 0xbb9c, v67
	v_fma_f16 v57, -0.5, v52, v8
	v_fma_f16 v52, -0.5, v70, v8
	;; [unrolled: 1-line block ×4, first 2 shown]
	v_fmac_f16_e32 v72, 0xbb9c, v50
	v_fmac_f16_e32 v65, 0x3b9c, v51
	v_sub_f16_e32 v76, v28, v27
	v_sub_f16_e32 v77, v25, v26
	;; [unrolled: 1-line block ×4, first 2 shown]
	v_add_f16_e32 v49, v59, v69
	v_add_f16_e32 v69, v71, v74
	;; [unrolled: 1-line block ×3, first 2 shown]
	v_fmac_f16_e32 v81, 0x38b4, v62
	v_fmac_f16_e32 v82, 0x38b4, v50
	;; [unrolled: 1-line block ×6, first 2 shown]
	v_fmamk_f16 v50, v24, 0xbb9c, v57
	v_fmamk_f16 v54, v14, 0xbb9c, v52
	v_fmac_f16_e32 v52, 0x3b9c, v14
	v_fmamk_f16 v51, v58, 0x3b9c, v60
	v_fmamk_f16 v55, v23, 0x3b9c, v53
	v_fmac_f16_e32 v53, 0xbb9c, v23
	v_fmac_f16_e32 v72, 0xb8b4, v62
	;; [unrolled: 1-line block ×3, first 2 shown]
	v_add_f16_e32 v59, v76, v77
	v_add_f16_e32 v70, v79, v80
	;; [unrolled: 1-line block ×3, first 2 shown]
	v_fmac_f16_e32 v81, 0x34f2, v73
	v_fmac_f16_e32 v84, 0x34f2, v66
	;; [unrolled: 1-line block ×14, first 2 shown]
	v_pack_b32_f16 v62, v71, v62
	v_fmac_f16_e32 v50, 0x34f2, v49
	v_fmac_f16_e32 v54, 0x34f2, v69
	;; [unrolled: 1-line block ×5, first 2 shown]
	v_pack_b32_f16 v63, v81, v84
	v_fmac_f16_e32 v53, 0x34f2, v70
	v_pack_b32_f16 v64, v82, v85
	v_pack_b32_f16 v11, v11, v61
	;; [unrolled: 1-line block ×3, first 2 shown]
	ds_write2_b32 v48, v62, v63 offset1:6
	ds_write2_b32 v48, v64, v11 offset0:12 offset1:18
	ds_write_b32 v48, v61 offset:96
	s_and_saveexec_b32 s4, s1
	s_cbranch_execz .LBB0_15
; %bb.14:
	v_mul_f16_e32 v11, 0x3b9c, v24
	v_mul_f16_e32 v24, 0x3b9c, v58
	v_add_f16_e32 v9, v9, v28
	v_add_f16_e32 v8, v8, v56
	v_mul_f16_e32 v14, 0x38b4, v14
	v_mul_f16_e32 v23, 0x38b4, v23
	v_sub_f16_e32 v24, v60, v24
	v_add_f16_e32 v9, v9, v27
	v_add_f16_e32 v8, v8, v15
	v_add_f16_e32 v11, v57, v11
	v_mul_f16_e32 v27, 0x34f2, v59
	v_sub_f16_e32 v15, v24, v23
	v_add_f16_e32 v9, v9, v26
	v_mul_f16_e32 v23, 0x34f2, v49
	v_add_f16_e32 v8, v8, v13
	v_add_f16_e32 v11, v14, v11
	;; [unrolled: 1-line block ×4, first 2 shown]
	v_mov_b32_e32 v14, 2
	v_add_f16_e32 v8, v8, v12
	v_add_f16_e32 v11, v23, v11
	v_lshlrev_b32_sdwa v12, v14, v43 dst_sel:DWORD dst_unused:UNUSED_PAD src0_sel:DWORD src1_sel:WORD_0
	v_pack_b32_f16 v8, v8, v9
	v_pack_b32_f16 v9, v11, v13
	v_perm_b32 v11, v55, v54, 0x5040100
	v_perm_b32 v13, v53, v52, 0x5040100
	;; [unrolled: 1-line block ×3, first 2 shown]
	ds_write2_b32 v12, v8, v9 offset1:6
	ds_write2_b32 v12, v11, v13 offset0:12 offset1:18
	ds_write_b32 v12, v14 offset:96
.LBB0_15:
	s_or_b32 exec_lo, exec_lo, s4
	v_mul_lo_u16 v8, 0x89, v10
	s_waitcnt lgkmcnt(0)
	s_barrier
	buffer_gl0_inv
	v_add_nc_u32_e32 v60, 0x600, v33
	v_lshrrev_b16 v49, 12, v8
	v_add_nc_u32_e32 v61, 0xd00, v33
	v_mov_b32_e32 v58, 0xd2
	v_mad_u64_u32 v[27:28], null, v38, 24, s[2:3]
	v_mul_lo_u16 v8, v49, 30
	v_mul_u32_u24_sdwa v49, v49, v58 dst_sel:DWORD dst_unused:UNUSED_PAD src0_sel:WORD_0 src1_sel:DWORD
	v_sub_nc_u16 v8, v38, v8
	v_and_b32_e32 v56, 0xff, v8
	v_mad_u64_u32 v[12:13], null, v56, 24, s[2:3]
	v_add_lshl_u32 v49, v49, v56, 2
	s_clause 0x1
	global_load_dwordx4 v[8:11], v[12:13], off offset:112
	global_load_dwordx2 v[23:24], v[12:13], off offset:128
	ds_read2_b32 v[12:13], v33 offset1:210
	ds_read_b32 v57, v33 offset:5040
	ds_read2_b32 v[14:15], v60 offset0:36 offset1:246
	ds_read2_b32 v[25:26], v61 offset0:8 offset1:218
	s_waitcnt vmcnt(0) lgkmcnt(0)
	s_barrier
	buffer_gl0_inv
	v_lshrrev_b32_e32 v58, 16, v13
	v_lshrrev_b32_e32 v59, 16, v57
	;; [unrolled: 1-line block ×6, first 2 shown]
	v_mul_f16_sdwa v56, v58, v8 dst_sel:DWORD dst_unused:UNUSED_PAD src0_sel:DWORD src1_sel:WORD_1
	v_mul_f16_sdwa v66, v13, v8 dst_sel:DWORD dst_unused:UNUSED_PAD src0_sel:DWORD src1_sel:WORD_1
	;; [unrolled: 1-line block ×12, first 2 shown]
	v_fma_f16 v13, v13, v8, -v56
	v_fmac_f16_e32 v66, v58, v8
	v_fma_f16 v14, v14, v9, -v67
	v_fmac_f16_e32 v68, v62, v9
	;; [unrolled: 2-line block ×6, first 2 shown]
	v_add_f16_e32 v57, v13, v56
	v_add_f16_e32 v58, v66, v76
	;; [unrolled: 1-line block ×4, first 2 shown]
	v_sub_f16_e32 v13, v13, v56
	v_sub_f16_e32 v56, v66, v76
	;; [unrolled: 1-line block ×4, first 2 shown]
	v_add_f16_e32 v63, v15, v25
	v_add_f16_e32 v64, v70, v72
	v_sub_f16_e32 v15, v25, v15
	v_sub_f16_e32 v25, v72, v70
	v_add_f16_e32 v65, v59, v57
	v_add_f16_e32 v66, v62, v58
	v_sub_f16_e32 v67, v59, v57
	v_sub_f16_e32 v68, v62, v58
	;; [unrolled: 1-line block ×6, first 2 shown]
	v_add_f16_e32 v69, v15, v14
	v_add_f16_e32 v70, v25, v26
	v_sub_f16_e32 v71, v15, v14
	v_sub_f16_e32 v72, v25, v26
	;; [unrolled: 1-line block ×4, first 2 shown]
	v_add_f16_e32 v63, v63, v65
	v_add_f16_e32 v64, v64, v66
	v_sub_f16_e32 v15, v13, v15
	v_sub_f16_e32 v25, v56, v25
	v_add_f16_e32 v13, v69, v13
	v_add_f16_e32 v56, v70, v56
	v_mul_f16_e32 v57, 0x3a52, v57
	v_mul_f16_e32 v58, 0x3a52, v58
	;; [unrolled: 1-line block ×8, first 2 shown]
	v_add_f16_e32 v73, v12, v63
	v_add_f16_sdwa v12, v12, v64 dst_sel:DWORD dst_unused:UNUSED_PAD src0_sel:WORD_1 src1_sel:DWORD
	v_fmamk_f16 v59, v59, 0x2b26, v57
	v_fmamk_f16 v62, v62, 0x2b26, v58
	v_fma_f16 v65, v67, 0x39e0, -v65
	v_fma_f16 v66, v68, 0x39e0, -v66
	;; [unrolled: 1-line block ×4, first 2 shown]
	v_fmamk_f16 v67, v15, 0x3574, v69
	v_fmamk_f16 v68, v25, 0x3574, v70
	v_fma_f16 v14, v14, 0x3b00, -v69
	v_fma_f16 v26, v26, 0x3b00, -v70
	;; [unrolled: 1-line block ×4, first 2 shown]
	v_fmamk_f16 v63, v63, 0xbcab, v73
	v_fmamk_f16 v64, v64, 0xbcab, v12
	v_fmac_f16_e32 v67, 0x370e, v13
	v_fmac_f16_e32 v68, 0x370e, v56
	;; [unrolled: 1-line block ×6, first 2 shown]
	v_add_f16_e32 v13, v59, v63
	v_add_f16_e32 v56, v62, v64
	;; [unrolled: 1-line block ×7, first 2 shown]
	v_sub_f16_e32 v64, v56, v67
	v_add_f16_e32 v65, v25, v57
	v_sub_f16_e32 v66, v58, v15
	v_sub_f16_e32 v69, v59, v26
	v_add_f16_e32 v70, v14, v62
	v_add_f16_e32 v26, v26, v59
	v_sub_f16_e32 v14, v62, v14
	v_sub_f16_e32 v25, v57, v25
	v_add_f16_e32 v15, v15, v58
	v_sub_f16_e32 v13, v13, v68
	v_add_f16_e32 v56, v67, v56
	v_pack_b32_f16 v12, v73, v12
	v_pack_b32_f16 v57, v63, v64
	;; [unrolled: 1-line block ×7, first 2 shown]
	ds_write2_b32 v49, v12, v57 offset1:30
	ds_write2_b32 v49, v58, v59 offset0:60 offset1:90
	ds_write2_b32 v49, v14, v15 offset0:120 offset1:150
	ds_write_b32 v49, v13 offset:720
	s_waitcnt lgkmcnt(0)
	s_barrier
	buffer_gl0_inv
	s_clause 0x1
	global_load_dwordx4 v[12:15], v[27:28], off offset:832
	global_load_dwordx2 v[25:26], v[27:28], off offset:848
	ds_read2_b32 v[27:28], v33 offset1:210
	ds_read2_b32 v[56:57], v60 offset0:36 offset1:246
	ds_read2_b32 v[58:59], v61 offset0:8 offset1:218
	ds_read_b32 v62, v33 offset:5040
	s_waitcnt lgkmcnt(3)
	v_lshrrev_b32_e32 v63, 16, v28
	s_waitcnt lgkmcnt(2)
	v_lshrrev_b32_e32 v64, 16, v56
	;; [unrolled: 2-line block ×4, first 2 shown]
	v_lshrrev_b32_e32 v65, 16, v57
	v_lshrrev_b32_e32 v66, 16, v58
	s_waitcnt vmcnt(1)
	v_mul_f16_sdwa v69, v63, v12 dst_sel:DWORD dst_unused:UNUSED_PAD src0_sel:DWORD src1_sel:WORD_1
	v_mul_f16_sdwa v70, v28, v12 dst_sel:DWORD dst_unused:UNUSED_PAD src0_sel:DWORD src1_sel:WORD_1
	v_mul_f16_sdwa v71, v64, v13 dst_sel:DWORD dst_unused:UNUSED_PAD src0_sel:DWORD src1_sel:WORD_1
	v_mul_f16_sdwa v72, v56, v13 dst_sel:DWORD dst_unused:UNUSED_PAD src0_sel:DWORD src1_sel:WORD_1
	s_waitcnt vmcnt(0)
	v_mul_f16_sdwa v77, v67, v25 dst_sel:DWORD dst_unused:UNUSED_PAD src0_sel:DWORD src1_sel:WORD_1
	v_mul_f16_sdwa v78, v59, v25 dst_sel:DWORD dst_unused:UNUSED_PAD src0_sel:DWORD src1_sel:WORD_1
	;; [unrolled: 1-line block ×8, first 2 shown]
	v_fma_f16 v28, v28, v12, -v69
	v_fmac_f16_e32 v70, v63, v12
	v_fma_f16 v56, v56, v13, -v71
	v_fmac_f16_e32 v72, v64, v13
	;; [unrolled: 2-line block ×6, first 2 shown]
	v_add_f16_e32 v63, v28, v62
	v_add_f16_e32 v64, v70, v80
	;; [unrolled: 1-line block ×4, first 2 shown]
	v_sub_f16_e32 v28, v28, v62
	v_sub_f16_e32 v62, v70, v80
	;; [unrolled: 1-line block ×4, first 2 shown]
	v_add_f16_e32 v67, v57, v58
	v_add_f16_e32 v68, v74, v76
	v_sub_f16_e32 v57, v58, v57
	v_sub_f16_e32 v58, v76, v74
	v_add_f16_e32 v69, v65, v63
	v_add_f16_e32 v70, v66, v64
	v_sub_f16_e32 v71, v65, v63
	v_sub_f16_e32 v72, v66, v64
	;; [unrolled: 1-line block ×6, first 2 shown]
	v_add_f16_e32 v73, v57, v56
	v_add_f16_e32 v74, v58, v59
	v_sub_f16_e32 v75, v57, v56
	v_sub_f16_e32 v76, v58, v59
	;; [unrolled: 1-line block ×4, first 2 shown]
	v_add_f16_e32 v67, v67, v69
	v_add_f16_e32 v68, v68, v70
	v_sub_f16_e32 v57, v28, v57
	v_sub_f16_e32 v58, v62, v58
	v_add_f16_e32 v28, v73, v28
	v_add_f16_e32 v62, v74, v62
	v_mul_f16_e32 v63, 0x3a52, v63
	v_mul_f16_e32 v64, 0x3a52, v64
	;; [unrolled: 1-line block ×8, first 2 shown]
	v_add_f16_e32 v77, v27, v67
	v_add_f16_sdwa v27, v27, v68 dst_sel:DWORD dst_unused:UNUSED_PAD src0_sel:WORD_1 src1_sel:DWORD
	v_fmamk_f16 v65, v65, 0x2b26, v63
	v_fmamk_f16 v66, v66, 0x2b26, v64
	v_fma_f16 v69, v71, 0x39e0, -v69
	v_fma_f16 v70, v72, 0x39e0, -v70
	;; [unrolled: 1-line block ×4, first 2 shown]
	v_fmamk_f16 v71, v57, 0x3574, v73
	v_fmamk_f16 v72, v58, 0x3574, v74
	v_fma_f16 v56, v56, 0x3b00, -v73
	v_fma_f16 v59, v59, 0x3b00, -v74
	;; [unrolled: 1-line block ×4, first 2 shown]
	v_fmamk_f16 v67, v67, 0xbcab, v77
	v_fmamk_f16 v68, v68, 0xbcab, v27
	v_fmac_f16_e32 v71, 0x370e, v28
	v_fmac_f16_e32 v72, 0x370e, v62
	;; [unrolled: 1-line block ×6, first 2 shown]
	v_add_f16_e32 v28, v65, v67
	v_add_f16_e32 v62, v66, v68
	v_add_f16_e32 v65, v69, v67
	v_add_f16_e32 v63, v63, v67
	v_add_f16_e32 v64, v64, v68
	v_add_f16_e32 v66, v70, v68
	v_add_f16_e32 v67, v72, v28
	v_sub_f16_e32 v68, v62, v71
	v_add_f16_e32 v69, v58, v63
	v_sub_f16_e32 v70, v64, v57
	v_sub_f16_e32 v73, v65, v59
	v_add_f16_e32 v74, v56, v66
	v_add_f16_e32 v59, v59, v65
	v_sub_f16_e32 v65, v66, v56
	v_sub_f16_e32 v58, v63, v58
	v_add_f16_e32 v63, v57, v64
	v_sub_f16_e32 v56, v28, v72
	v_add_f16_e32 v57, v71, v62
	v_pack_b32_f16 v27, v77, v27
	v_pack_b32_f16 v28, v67, v68
	;; [unrolled: 1-line block ×7, first 2 shown]
	ds_write2_b32 v33, v27, v28 offset1:210
	ds_write2_b32 v60, v62, v64 offset0:36 offset1:246
	ds_write2_b32 v61, v59, v58 offset0:8 offset1:218
	ds_write_b32 v33, v63 offset:5040
	s_waitcnt lgkmcnt(0)
	s_barrier
	buffer_gl0_inv
	global_load_dword v60, v[18:19], off offset:1784
	v_add_co_u32 v27, s2, 0x16f8, v29
	v_add_co_ci_u32_e64 v28, s2, 0, v30, s2
	v_add_co_u32 v58, s2, 0x2000, v29
	v_add_co_ci_u32_e64 v59, s2, 0, v30, s2
	;; [unrolled: 2-line block ×3, first 2 shown]
	s_clause 0x4
	global_load_dword v61, v[27:28], off offset:840
	global_load_dword v62, v[58:59], off offset:1468
	;; [unrolled: 1-line block ×5, first 2 shown]
	ds_read2_b32 v[29:30], v33 offset1:210
	ds_read_b32 v67, v33 offset:1680
	v_add_nc_u32_e32 v69, 0x300, v33
	s_waitcnt lgkmcnt(1)
	v_lshrrev_b32_e32 v58, 16, v29
	s_waitcnt vmcnt(5)
	v_mul_f16_sdwa v59, v58, v60 dst_sel:DWORD dst_unused:UNUSED_PAD src0_sel:DWORD src1_sel:WORD_1
	v_mul_f16_sdwa v66, v29, v60 dst_sel:DWORD dst_unused:UNUSED_PAD src0_sel:DWORD src1_sel:WORD_1
	v_fma_f16 v29, v29, v60, -v59
	v_fmac_f16_e32 v66, v58, v60
	ds_read_b32 v60, v33 offset:4620
	s_waitcnt lgkmcnt(1)
	v_lshrrev_b32_e32 v68, 16, v67
	s_waitcnt vmcnt(4)
	v_mul_f16_sdwa v72, v30, v61 dst_sel:DWORD dst_unused:UNUSED_PAD src0_sel:DWORD src1_sel:WORD_1
	v_pack_b32_f16 v58, v29, v66
	v_add_nc_u32_e32 v29, 0xb00, v33
	v_lshrrev_b32_e32 v66, 16, v30
	s_waitcnt vmcnt(1)
	v_mul_f16_sdwa v73, v68, v64 dst_sel:DWORD dst_unused:UNUSED_PAD src0_sel:DWORD src1_sel:WORD_1
	v_mul_f16_sdwa v74, v67, v64 dst_sel:DWORD dst_unused:UNUSED_PAD src0_sel:DWORD src1_sel:WORD_1
	ds_write_b32 v33, v58
	ds_read2_b32 v[58:59], v29 offset0:31 offset1:241
	v_mul_f16_sdwa v71, v66, v61 dst_sel:DWORD dst_unused:UNUSED_PAD src0_sel:DWORD src1_sel:WORD_1
	v_fmac_f16_e32 v72, v66, v61
	v_fmac_f16_e32 v74, v68, v64
	v_fma_f16 v30, v30, v61, -v71
	v_fma_f16 v61, v67, v64, -v73
	s_waitcnt lgkmcnt(2)
	v_lshrrev_b32_e32 v70, 16, v60
	v_mul_f16_sdwa v76, v60, v63 dst_sel:DWORD dst_unused:UNUSED_PAD src0_sel:DWORD src1_sel:WORD_1
	v_pack_b32_f16 v30, v30, v72
	v_pack_b32_f16 v61, v61, v74
	v_mul_f16_sdwa v75, v70, v63 dst_sel:DWORD dst_unused:UNUSED_PAD src0_sel:DWORD src1_sel:WORD_1
	v_fmac_f16_e32 v76, v70, v63
	s_waitcnt lgkmcnt(0)
	v_lshrrev_b32_e32 v66, 16, v58
	v_lshrrev_b32_e32 v67, 16, v59
	s_waitcnt vmcnt(0)
	v_mul_f16_sdwa v64, v58, v65 dst_sel:DWORD dst_unused:UNUSED_PAD src0_sel:DWORD src1_sel:WORD_1
	v_mul_f16_sdwa v68, v59, v62 dst_sel:DWORD dst_unused:UNUSED_PAD src0_sel:DWORD src1_sel:WORD_1
	v_fma_f16 v60, v60, v63, -v75
	v_mul_f16_sdwa v71, v66, v65 dst_sel:DWORD dst_unused:UNUSED_PAD src0_sel:DWORD src1_sel:WORD_1
	v_mul_f16_sdwa v73, v67, v62 dst_sel:DWORD dst_unused:UNUSED_PAD src0_sel:DWORD src1_sel:WORD_1
	v_fmac_f16_e32 v64, v66, v65
	v_fmac_f16_e32 v68, v67, v62
	v_pack_b32_f16 v60, v60, v76
	v_fma_f16 v58, v58, v65, -v71
	v_fma_f16 v59, v59, v62, -v73
	v_pack_b32_f16 v58, v58, v64
	v_pack_b32_f16 v59, v59, v68
	ds_write2_b32 v69, v30, v61 offset0:18 offset1:228
	ds_write2_b32 v29, v58, v59 offset0:31 offset1:241
	ds_write_b32 v33, v60 offset:4620
	s_and_saveexec_b32 s3, vcc_lo
	s_cbranch_execz .LBB0_17
; %bb.16:
	v_add_co_u32 v58, s2, 0x800, v27
	v_add_co_ci_u32_e64 v59, s2, 0, v28, s2
	v_add_co_u32 v27, s2, 0x1000, v27
	v_add_co_ci_u32_e64 v28, s2, 0, v28, s2
	s_clause 0x1
	global_load_dword v30, v[58:59], off offset:472
	global_load_dword v27, v[27:28], off offset:1364
	ds_read_b32 v28, v33 offset:2520
	ds_read_b32 v58, v33 offset:5460
	s_waitcnt lgkmcnt(1)
	v_lshrrev_b32_e32 v59, 16, v28
	s_waitcnt lgkmcnt(0)
	v_lshrrev_b32_e32 v60, 16, v58
	s_waitcnt vmcnt(1)
	v_mul_f16_sdwa v61, v59, v30 dst_sel:DWORD dst_unused:UNUSED_PAD src0_sel:DWORD src1_sel:WORD_1
	v_mul_f16_sdwa v62, v28, v30 dst_sel:DWORD dst_unused:UNUSED_PAD src0_sel:DWORD src1_sel:WORD_1
	s_waitcnt vmcnt(0)
	v_mul_f16_sdwa v63, v60, v27 dst_sel:DWORD dst_unused:UNUSED_PAD src0_sel:DWORD src1_sel:WORD_1
	v_mul_f16_sdwa v64, v58, v27 dst_sel:DWORD dst_unused:UNUSED_PAD src0_sel:DWORD src1_sel:WORD_1
	v_fma_f16 v28, v28, v30, -v61
	v_fmac_f16_e32 v62, v59, v30
	v_fma_f16 v30, v58, v27, -v63
	v_fmac_f16_e32 v64, v60, v27
	v_pack_b32_f16 v27, v28, v62
	v_pack_b32_f16 v28, v30, v64
	ds_write_b32 v33, v27 offset:2520
	ds_write_b32 v33, v28 offset:5460
.LBB0_17:
	s_or_b32 exec_lo, exec_lo, s3
	s_waitcnt lgkmcnt(0)
	s_barrier
	buffer_gl0_inv
	ds_read2_b32 v[27:28], v33 offset1:210
	ds_read2_b32 v[29:30], v29 offset0:31 offset1:241
	ds_read_b32 v60, v33 offset:1680
	ds_read_b32 v61, v33 offset:4620
	s_and_saveexec_b32 s2, vcc_lo
	s_cbranch_execz .LBB0_19
; %bb.18:
	ds_read_b32 v56, v33 offset:2520
	ds_read_b32 v54, v33 offset:5460
	s_waitcnt lgkmcnt(1)
	v_lshrrev_b32_e32 v57, 16, v56
	s_waitcnt lgkmcnt(0)
	v_lshrrev_b32_e32 v55, 16, v54
.LBB0_19:
	s_or_b32 exec_lo, exec_lo, s2
	v_sub_f16_e32 v58, v56, v54
	v_sub_f16_e32 v59, v57, v55
	s_waitcnt lgkmcnt(2)
	v_pk_add_f16 v62, v27, v29 neg_lo:[0,1] neg_hi:[0,1]
	v_pk_add_f16 v29, v28, v30 neg_lo:[0,1] neg_hi:[0,1]
	s_waitcnt lgkmcnt(0)
	v_pk_add_f16 v64, v60, v61 neg_lo:[0,1] neg_hi:[0,1]
	v_fma_f16 v54, v56, 2.0, -v58
	v_fma_f16 v55, v57, 2.0, -v59
	v_pk_fma_f16 v61, v27, 2.0, v62 op_sel_hi:[1,0,1] neg_lo:[0,0,1] neg_hi:[0,0,1]
	v_pk_fma_f16 v28, v28, 2.0, v29 op_sel_hi:[1,0,1] neg_lo:[0,0,1] neg_hi:[0,0,1]
	;; [unrolled: 1-line block ×3, first 2 shown]
	s_barrier
	buffer_gl0_inv
	ds_write_b64 v31, v[61:62]
	ds_write_b64 v46, v[28:29]
	;; [unrolled: 1-line block ×3, first 2 shown]
	s_and_saveexec_b32 s2, vcc_lo
	s_cbranch_execz .LBB0_21
; %bb.20:
	v_perm_b32 v28, v59, v58, 0x5040100
	v_perm_b32 v27, v55, v54, 0x5040100
	ds_write_b64 v32, v[27:28]
.LBB0_21:
	s_or_b32 exec_lo, exec_lo, s2
	v_add_nc_u32_e32 v29, 0x700, v33
	v_add_nc_u32_e32 v30, 0xf00, v33
	s_waitcnt lgkmcnt(0)
	s_barrier
	buffer_gl0_inv
	ds_read2_b32 v[27:28], v33 offset1:210
	ds_read2_b32 v[31:32], v29 offset0:42 offset1:252
	ds_read2_b32 v[29:30], v30 offset0:20 offset1:230
	s_and_saveexec_b32 s2, s0
	s_cbranch_execz .LBB0_23
; %bb.22:
	ds_read_b32 v54, v33 offset:1680
	ds_read_b32 v58, v33 offset:3640
	;; [unrolled: 1-line block ×3, first 2 shown]
	s_waitcnt lgkmcnt(2)
	v_lshrrev_b32_e32 v55, 16, v54
	s_waitcnt lgkmcnt(1)
	v_lshrrev_b32_e32 v59, 16, v58
	;; [unrolled: 2-line block ×3, first 2 shown]
.LBB0_23:
	s_or_b32 exec_lo, exec_lo, s2
	s_waitcnt lgkmcnt(1)
	v_lshrrev_b32_e32 v47, 16, v31
	s_waitcnt lgkmcnt(0)
	v_lshrrev_b32_e32 v57, 16, v29
	v_lshrrev_b32_e32 v60, 16, v32
	v_mul_f16_sdwa v62, v21, v31 dst_sel:DWORD dst_unused:UNUSED_PAD src0_sel:WORD_1 src1_sel:DWORD
	v_lshrrev_b32_e32 v63, 16, v30
	v_mul_f16_sdwa v61, v21, v47 dst_sel:DWORD dst_unused:UNUSED_PAD src0_sel:WORD_1 src1_sel:DWORD
	v_mul_f16_sdwa v64, v22, v57 dst_sel:DWORD dst_unused:UNUSED_PAD src0_sel:WORD_1 src1_sel:DWORD
	;; [unrolled: 1-line block ×3, first 2 shown]
	v_lshrrev_b32_e32 v56, 16, v27
	v_lshrrev_b32_e32 v46, 16, v28
	v_fmac_f16_e32 v61, v21, v31
	v_fma_f16 v31, v21, v47, -v62
	v_mul_f16_sdwa v47, v21, v60 dst_sel:DWORD dst_unused:UNUSED_PAD src0_sel:WORD_1 src1_sel:DWORD
	v_fmac_f16_e32 v64, v22, v29
	v_mul_f16_sdwa v29, v21, v32 dst_sel:DWORD dst_unused:UNUSED_PAD src0_sel:WORD_1 src1_sel:DWORD
	v_mul_f16_sdwa v62, v22, v63 dst_sel:DWORD dst_unused:UNUSED_PAD src0_sel:WORD_1 src1_sel:DWORD
	v_fma_f16 v57, v22, v57, -v65
	v_fmac_f16_e32 v47, v21, v32
	v_mul_f16_sdwa v32, v22, v30 dst_sel:DWORD dst_unused:UNUSED_PAD src0_sel:WORD_1 src1_sel:DWORD
	v_fma_f16 v29, v21, v60, -v29
	v_mul_f16_sdwa v60, v21, v59 dst_sel:DWORD dst_unused:UNUSED_PAD src0_sel:WORD_1 src1_sel:DWORD
	v_fmac_f16_e32 v62, v22, v30
	v_mul_f16_sdwa v30, v21, v58 dst_sel:DWORD dst_unused:UNUSED_PAD src0_sel:WORD_1 src1_sel:DWORD
	v_fma_f16 v32, v22, v63, -v32
	v_mul_f16_sdwa v63, v22, v53 dst_sel:DWORD dst_unused:UNUSED_PAD src0_sel:WORD_1 src1_sel:DWORD
	v_fmac_f16_e32 v60, v21, v58
	v_mul_f16_sdwa v58, v22, v52 dst_sel:DWORD dst_unused:UNUSED_PAD src0_sel:WORD_1 src1_sel:DWORD
	v_fma_f16 v21, v21, v59, -v30
	v_add_f16_e32 v30, v61, v64
	v_fmac_f16_e32 v63, v22, v52
	v_add_f16_e32 v52, v27, v61
	v_fma_f16 v53, v22, v53, -v58
	v_add_f16_e32 v22, v31, v57
	v_fma_f16 v30, -0.5, v30, v27
	v_sub_f16_e32 v27, v31, v57
	v_add_f16_e32 v31, v56, v31
	v_add_f16_e32 v59, v28, v47
	v_fmac_f16_e32 v56, -0.5, v22
	v_sub_f16_e32 v22, v61, v64
	v_fmamk_f16 v58, v27, 0xbaee, v30
	v_fmac_f16_e32 v30, 0x3aee, v27
	v_add_f16_e32 v31, v31, v57
	v_add_f16_e32 v27, v47, v62
	v_fmamk_f16 v57, v22, 0x3aee, v56
	v_fmac_f16_e32 v56, 0xbaee, v22
	v_add_f16_e32 v22, v29, v32
	v_add_f16_e32 v52, v52, v64
	v_fmac_f16_e32 v28, -0.5, v27
	v_sub_f16_e32 v27, v29, v32
	v_add_f16_e32 v29, v46, v29
	v_fmac_f16_e32 v46, -0.5, v22
	v_sub_f16_e32 v22, v47, v62
	v_add_f16_e32 v59, v59, v62
	v_fmamk_f16 v47, v27, 0xbaee, v28
	v_fmac_f16_e32 v28, 0x3aee, v27
	v_add_f16_e32 v27, v63, v60
	v_fmamk_f16 v61, v22, 0x3aee, v46
	v_fmac_f16_e32 v46, 0xbaee, v22
	v_add_f16_e32 v22, v53, v21
	v_add_f16_e32 v32, v29, v32
	;; [unrolled: 1-line block ×3, first 2 shown]
	v_fmac_f16_e32 v54, -0.5, v27
	v_sub_f16_e32 v27, v21, v53
	v_add_f16_e32 v62, v21, v55
	v_fmac_f16_e32 v55, -0.5, v22
	v_sub_f16_e32 v60, v60, v63
	v_add_f16_e32 v21, v63, v29
	v_fmamk_f16 v22, v27, 0xbaee, v54
	v_fmac_f16_e32 v54, 0x3aee, v27
	v_add_f16_e32 v27, v53, v62
	v_fmamk_f16 v29, v60, 0x3aee, v55
	v_fmac_f16_e32 v55, 0xbaee, v60
	v_pack_b32_f16 v31, v52, v31
	v_pack_b32_f16 v52, v58, v57
	;; [unrolled: 1-line block ×6, first 2 shown]
	s_barrier
	buffer_gl0_inv
	ds_write2_b32 v45, v31, v52 offset1:2
	ds_write_b32 v45, v30 offset:16
	ds_write2_b32 v44, v32, v47 offset1:2
	ds_write_b32 v44, v53 offset:16
	s_and_saveexec_b32 s2, s0
	s_cbranch_execz .LBB0_25
; %bb.24:
	v_mul_u32_u24_e32 v30, 6, v42
	v_perm_b32 v31, v27, v21, 0x5040100
	v_perm_b32 v32, v29, v22, 0x5040100
	v_or_b32_e32 v30, v30, v41
	v_perm_b32 v41, v55, v54, 0x5040100
	v_lshlrev_b32_e32 v30, 2, v30
	ds_write2_b32 v30, v31, v32 offset1:2
	ds_write_b32 v30, v41 offset:16
.LBB0_25:
	s_or_b32 exec_lo, exec_lo, s2
	s_waitcnt lgkmcnt(0)
	s_barrier
	buffer_gl0_inv
	ds_read_b32 v30, v33
	ds_read_b32 v32, v33 offset:1176
	ds_read_b32 v42, v33 offset:2352
	;; [unrolled: 1-line block ×4, first 2 shown]
	s_and_saveexec_b32 s0, s1
	s_cbranch_execz .LBB0_27
; %bb.26:
	ds_read_b32 v28, v33 offset:840
	ds_read_b32 v21, v33 offset:2016
	;; [unrolled: 1-line block ×5, first 2 shown]
	s_waitcnt lgkmcnt(4)
	v_lshrrev_b32_e32 v46, 16, v28
	s_waitcnt lgkmcnt(3)
	v_lshrrev_b32_e32 v27, 16, v21
	;; [unrolled: 2-line block ×5, first 2 shown]
.LBB0_27:
	s_or_b32 exec_lo, exec_lo, s0
	s_waitcnt lgkmcnt(2)
	v_lshrrev_b32_e32 v44, 16, v42
	s_waitcnt lgkmcnt(1)
	v_lshrrev_b32_e32 v45, 16, v41
	v_lshrrev_b32_e32 v47, 16, v32
	s_waitcnt lgkmcnt(0)
	v_lshrrev_b32_e32 v52, 16, v31
	v_mul_f16_sdwa v57, v4, v32 dst_sel:DWORD dst_unused:UNUSED_PAD src0_sel:WORD_1 src1_sel:DWORD
	v_mul_f16_sdwa v53, v5, v44 dst_sel:DWORD dst_unused:UNUSED_PAD src0_sel:WORD_1 src1_sel:DWORD
	;; [unrolled: 1-line block ×5, first 2 shown]
	v_fma_f16 v47, v4, v47, -v57
	v_fmac_f16_e32 v53, v5, v42
	v_fmac_f16_e32 v56, v6, v41
	v_mul_f16_sdwa v42, v7, v31 dst_sel:DWORD dst_unused:UNUSED_PAD src0_sel:WORD_1 src1_sel:DWORD
	v_mul_f16_sdwa v41, v6, v41 dst_sel:DWORD dst_unused:UNUSED_PAD src0_sel:WORD_1 src1_sel:DWORD
	v_fmac_f16_e32 v59, v4, v32
	v_fma_f16 v5, v5, v44, -v58
	v_add_f16_e32 v4, v53, v56
	v_fma_f16 v32, v7, v52, -v42
	v_mul_f16_sdwa v42, v7, v52 dst_sel:DWORD dst_unused:UNUSED_PAD src0_sel:WORD_1 src1_sel:DWORD
	v_add_f16_e32 v44, v30, v59
	v_fma_f16 v6, v6, v45, -v41
	v_fma_f16 v4, -0.5, v4, v30
	v_sub_f16_e32 v52, v47, v32
	v_fmac_f16_e32 v42, v7, v31
	v_add_f16_e32 v7, v44, v53
	v_sub_f16_e32 v44, v5, v6
	v_sub_f16_e32 v45, v59, v53
	v_fmamk_f16 v31, v52, 0xbb9c, v4
	v_sub_f16_e32 v57, v42, v56
	v_fmac_f16_e32 v4, 0x3b9c, v52
	v_add_f16_e32 v58, v59, v42
	v_lshrrev_b32_e32 v41, 16, v30
	v_fmac_f16_e32 v31, 0xb8b4, v44
	v_add_f16_e32 v45, v45, v57
	v_fmac_f16_e32 v4, 0x38b4, v44
	v_fmac_f16_e32 v30, -0.5, v58
	v_add_f16_e32 v7, v7, v56
	v_add_f16_e32 v57, v5, v6
	v_fmac_f16_e32 v31, 0x34f2, v45
	v_fmac_f16_e32 v4, 0x34f2, v45
	v_fmamk_f16 v45, v44, 0x3b9c, v30
	v_sub_f16_e32 v58, v53, v59
	v_sub_f16_e32 v60, v56, v42
	v_fmac_f16_e32 v30, 0xbb9c, v44
	v_add_f16_e32 v7, v7, v42
	v_add_f16_e32 v44, v41, v47
	v_sub_f16_e32 v42, v59, v42
	v_add_f16_e32 v59, v47, v32
	v_fma_f16 v57, -0.5, v57, v41
	v_fmac_f16_e32 v45, 0xb8b4, v52
	v_add_f16_e32 v58, v58, v60
	v_fmac_f16_e32 v30, 0x38b4, v52
	v_add_f16_e32 v44, v44, v5
	v_sub_f16_e32 v53, v53, v56
	v_fmac_f16_e32 v41, -0.5, v59
	v_fmamk_f16 v52, v42, 0x3b9c, v57
	v_fmac_f16_e32 v45, 0x34f2, v58
	v_fmac_f16_e32 v30, 0x34f2, v58
	v_sub_f16_e32 v56, v47, v5
	v_sub_f16_e32 v58, v32, v6
	v_add_f16_e32 v44, v44, v6
	v_fmamk_f16 v59, v53, 0xbb9c, v41
	v_sub_f16_e32 v5, v5, v47
	v_sub_f16_e32 v6, v6, v32
	v_fmac_f16_e32 v41, 0x3b9c, v53
	v_fmac_f16_e32 v57, 0xbb9c, v42
	;; [unrolled: 1-line block ×3, first 2 shown]
	v_add_f16_e32 v47, v56, v58
	v_fmac_f16_e32 v59, 0x38b4, v42
	v_add_f16_e32 v5, v5, v6
	v_fmac_f16_e32 v41, 0xb8b4, v42
	v_fmac_f16_e32 v57, 0xb8b4, v53
	v_add_f16_e32 v6, v44, v32
	v_fmac_f16_e32 v52, 0x34f2, v47
	v_fmac_f16_e32 v59, 0x34f2, v5
	;; [unrolled: 1-line block ×4, first 2 shown]
	v_pack_b32_f16 v5, v7, v6
	v_pack_b32_f16 v6, v31, v52
	v_pack_b32_f16 v7, v45, v59
	v_pack_b32_f16 v30, v30, v41
	v_pack_b32_f16 v4, v4, v57
	s_barrier
	buffer_gl0_inv
	ds_write2_b32 v48, v5, v6 offset1:6
	ds_write2_b32 v48, v7, v30 offset0:12 offset1:18
	ds_write_b32 v48, v4 offset:96
	s_and_saveexec_b32 s0, s1
	s_cbranch_execz .LBB0_29
; %bb.28:
	v_mul_f16_sdwa v4, v1, v22 dst_sel:DWORD dst_unused:UNUSED_PAD src0_sel:WORD_1 src1_sel:DWORD
	v_mul_f16_sdwa v5, v0, v21 dst_sel:DWORD dst_unused:UNUSED_PAD src0_sel:WORD_1 src1_sel:DWORD
	;; [unrolled: 1-line block ×5, first 2 shown]
	v_fma_f16 v4, v1, v29, -v4
	v_fma_f16 v5, v0, v27, -v5
	v_mul_f16_sdwa v29, v1, v29 dst_sel:DWORD dst_unused:UNUSED_PAD src0_sel:WORD_1 src1_sel:DWORD
	v_mul_f16_sdwa v27, v0, v27 dst_sel:DWORD dst_unused:UNUSED_PAD src0_sel:WORD_1 src1_sel:DWORD
	;; [unrolled: 1-line block ×3, first 2 shown]
	v_fma_f16 v6, v3, v51, -v6
	v_fmac_f16_e32 v30, v2, v54
	v_fmac_f16_e32 v29, v1, v22
	v_fma_f16 v1, v2, v55, -v7
	v_fmac_f16_e32 v27, v0, v21
	v_fmac_f16_e32 v31, v3, v50
	v_add_f16_e32 v32, v6, v5
	v_sub_f16_e32 v3, v4, v5
	v_sub_f16_e32 v7, v1, v6
	;; [unrolled: 1-line block ×5, first 2 shown]
	v_add_f16_e32 v47, v1, v4
	v_sub_f16_e32 v48, v5, v4
	v_sub_f16_e32 v50, v6, v1
	v_add_f16_e32 v51, v30, v29
	v_add_f16_e32 v5, v5, v46
	v_fma_f16 v0, -0.5, v32, v46
	v_add_f16_e32 v32, v31, v27
	v_sub_f16_e32 v21, v27, v31
	v_add_f16_e32 v3, v7, v3
	v_sub_f16_e32 v7, v4, v1
	v_add_f16_e32 v41, v42, v41
	v_fma_f16 v42, -0.5, v47, v46
	v_add_f16_e32 v47, v50, v48
	v_fma_f16 v48, -0.5, v51, v28
	v_add_f16_e32 v4, v4, v5
	v_add_f16_e32 v5, v28, v27
	v_sub_f16_e32 v2, v29, v30
	v_fma_f16 v32, -0.5, v32, v28
	v_fmamk_f16 v46, v21, 0x3b9c, v42
	v_sub_f16_e32 v50, v27, v29
	v_sub_f16_e32 v51, v31, v30
	v_fmamk_f16 v52, v45, 0xbb9c, v48
	v_add_f16_e32 v1, v1, v4
	v_add_f16_e32 v4, v29, v5
	v_fmamk_f16 v22, v2, 0xbb9c, v0
	v_fmamk_f16 v44, v7, 0x3b9c, v32
	v_fmac_f16_e32 v0, 0x3b9c, v2
	v_fmac_f16_e32 v32, 0xbb9c, v7
	;; [unrolled: 1-line block ×5, first 2 shown]
	v_add_f16_e32 v27, v51, v50
	v_fmac_f16_e32 v52, 0xb8b4, v7
	v_add_f16_e32 v4, v30, v4
	v_fmac_f16_e32 v22, 0x38b4, v21
	v_fmac_f16_e32 v44, 0xb8b4, v45
	v_fmac_f16_e32 v0, 0xb8b4, v21
	v_fmac_f16_e32 v32, 0x38b4, v45
	v_fmac_f16_e32 v42, 0xb8b4, v2
	v_fmac_f16_e32 v48, 0x38b4, v7
	v_fmac_f16_e32 v46, 0x34f2, v47
	v_fmac_f16_e32 v52, 0x34f2, v27
	v_add_f16_e32 v1, v6, v1
	v_add_f16_e32 v4, v31, v4
	v_mov_b32_e32 v2, 2
	v_fmac_f16_e32 v22, 0x34f2, v3
	v_fmac_f16_e32 v44, 0x34f2, v41
	;; [unrolled: 1-line block ×6, first 2 shown]
	v_lshlrev_b32_sdwa v2, v2, v43 dst_sel:DWORD dst_unused:UNUSED_PAD src0_sel:DWORD src1_sel:WORD_0
	v_pack_b32_f16 v1, v4, v1
	v_pack_b32_f16 v3, v52, v46
	;; [unrolled: 1-line block ×5, first 2 shown]
	ds_write2_b32 v2, v1, v3 offset1:6
	ds_write2_b32 v2, v4, v0 offset0:12 offset1:18
	ds_write_b32 v2, v5 offset:96
.LBB0_29:
	s_or_b32 exec_lo, exec_lo, s0
	s_waitcnt lgkmcnt(0)
	s_barrier
	buffer_gl0_inv
	ds_read2_b32 v[0:1], v33 offset1:210
	v_add_nc_u32_e32 v6, 0x600, v33
	v_add_nc_u32_e32 v7, 0xd00, v33
	ds_read_b32 v21, v33 offset:5040
	ds_read2_b32 v[2:3], v6 offset0:36 offset1:246
	ds_read2_b32 v[4:5], v7 offset0:8 offset1:218
	s_waitcnt lgkmcnt(0)
	s_barrier
	buffer_gl0_inv
	s_mov_b32 s4, 0x3adcd25f
	s_mov_b32 s5, 0x3f464a89
	v_lshrrev_b32_e32 v22, 16, v1
	v_mul_f16_sdwa v28, v8, v1 dst_sel:DWORD dst_unused:UNUSED_PAD src0_sel:WORD_1 src1_sel:DWORD
	v_lshrrev_b32_e32 v27, 16, v21
	v_mul_f16_sdwa v29, v24, v21 dst_sel:DWORD dst_unused:UNUSED_PAD src0_sel:WORD_1 src1_sel:DWORD
	v_lshrrev_b32_e32 v30, 16, v2
	v_lshrrev_b32_e32 v31, 16, v3
	;; [unrolled: 1-line block ×3, first 2 shown]
	v_mul_f16_sdwa v42, v8, v22 dst_sel:DWORD dst_unused:UNUSED_PAD src0_sel:WORD_1 src1_sel:DWORD
	v_fma_f16 v22, v8, v22, -v28
	v_mul_f16_sdwa v28, v9, v2 dst_sel:DWORD dst_unused:UNUSED_PAD src0_sel:WORD_1 src1_sel:DWORD
	v_mul_f16_sdwa v43, v10, v3 dst_sel:DWORD dst_unused:UNUSED_PAD src0_sel:WORD_1 src1_sel:DWORD
	v_lshrrev_b32_e32 v32, 16, v4
	v_mul_f16_sdwa v45, v23, v5 dst_sel:DWORD dst_unused:UNUSED_PAD src0_sel:WORD_1 src1_sel:DWORD
	v_mul_f16_sdwa v46, v24, v27 dst_sel:DWORD dst_unused:UNUSED_PAD src0_sel:WORD_1 src1_sel:DWORD
	v_fma_f16 v27, v24, v27, -v29
	v_fmac_f16_e32 v42, v8, v1
	v_mul_f16_sdwa v1, v9, v30 dst_sel:DWORD dst_unused:UNUSED_PAD src0_sel:WORD_1 src1_sel:DWORD
	v_fma_f16 v8, v9, v30, -v28
	v_mul_f16_sdwa v28, v10, v31 dst_sel:DWORD dst_unused:UNUSED_PAD src0_sel:WORD_1 src1_sel:DWORD
	v_fma_f16 v29, v10, v31, -v43
	v_mul_f16_sdwa v31, v23, v41 dst_sel:DWORD dst_unused:UNUSED_PAD src0_sel:WORD_1 src1_sel:DWORD
	v_mul_f16_sdwa v44, v11, v4 dst_sel:DWORD dst_unused:UNUSED_PAD src0_sel:WORD_1 src1_sel:DWORD
	;; [unrolled: 1-line block ×3, first 2 shown]
	v_fmac_f16_e32 v46, v24, v21
	v_fmac_f16_e32 v1, v9, v2
	;; [unrolled: 1-line block ×4, first 2 shown]
	v_fma_f16 v3, v23, v41, -v45
	v_fmac_f16_e32 v30, v11, v4
	v_fma_f16 v2, v11, v32, -v44
	v_add_f16_e32 v4, v42, v46
	v_add_f16_e32 v5, v22, v27
	;; [unrolled: 1-line block ×4, first 2 shown]
	v_sub_f16_e32 v10, v22, v27
	v_sub_f16_e32 v1, v1, v31
	;; [unrolled: 1-line block ×3, first 2 shown]
	v_add_f16_e32 v8, v28, v30
	v_add_f16_e32 v22, v29, v2
	v_sub_f16_e32 v23, v30, v28
	v_sub_f16_e32 v2, v2, v29
	v_add_f16_e32 v24, v11, v4
	v_add_f16_e32 v27, v21, v5
	v_sub_f16_e32 v9, v42, v46
	v_sub_f16_e32 v28, v11, v4
	;; [unrolled: 1-line block ×7, first 2 shown]
	v_add_f16_e32 v30, v23, v1
	v_add_f16_e32 v31, v2, v3
	v_sub_f16_e32 v32, v23, v1
	v_sub_f16_e32 v41, v2, v3
	v_add_f16_e32 v8, v8, v24
	v_add_f16_e32 v22, v22, v27
	v_sub_f16_e32 v1, v1, v9
	v_sub_f16_e32 v3, v3, v10
	;; [unrolled: 1-line block ×4, first 2 shown]
	v_add_f16_e32 v9, v30, v9
	v_add_f16_e32 v10, v31, v10
	;; [unrolled: 1-line block ×3, first 2 shown]
	v_add_f16_sdwa v0, v0, v22 dst_sel:DWORD dst_unused:UNUSED_PAD src0_sel:WORD_1 src1_sel:DWORD
	v_mul_f16_e32 v4, 0x3a52, v4
	v_mul_f16_e32 v5, 0x3a52, v5
	;; [unrolled: 1-line block ×8, first 2 shown]
	v_fmamk_f16 v8, v8, 0xbcab, v24
	v_fmamk_f16 v22, v22, 0xbcab, v0
	;; [unrolled: 1-line block ×4, first 2 shown]
	v_fma_f16 v27, v28, 0x39e0, -v27
	v_fma_f16 v30, v29, 0x39e0, -v30
	;; [unrolled: 1-line block ×4, first 2 shown]
	v_fmamk_f16 v28, v23, 0xb574, v31
	v_fmamk_f16 v29, v2, 0xb574, v32
	v_fma_f16 v1, v1, 0xbb00, -v31
	v_fma_f16 v3, v3, 0xbb00, -v32
	;; [unrolled: 1-line block ×4, first 2 shown]
	v_add_f16_e32 v11, v11, v8
	v_add_f16_e32 v21, v21, v22
	v_fmac_f16_e32 v28, 0xb70e, v9
	v_fmac_f16_e32 v29, 0xb70e, v10
	v_add_f16_e32 v27, v27, v8
	v_add_f16_e32 v30, v30, v22
	;; [unrolled: 1-line block ×4, first 2 shown]
	v_fmac_f16_e32 v1, 0xb70e, v9
	v_fmac_f16_e32 v2, 0xb70e, v10
	;; [unrolled: 1-line block ×4, first 2 shown]
	v_add_f16_e32 v8, v29, v11
	v_sub_f16_e32 v9, v21, v28
	v_add_f16_e32 v10, v2, v4
	v_sub_f16_e32 v22, v5, v23
	v_sub_f16_e32 v31, v27, v3
	v_add_f16_e32 v32, v1, v30
	v_add_f16_e32 v3, v3, v27
	v_sub_f16_e32 v1, v30, v1
	v_sub_f16_e32 v2, v4, v2
	v_add_f16_e32 v4, v23, v5
	v_sub_f16_e32 v5, v11, v29
	v_add_f16_e32 v11, v28, v21
	v_pack_b32_f16 v0, v24, v0
	v_pack_b32_f16 v8, v8, v9
	;; [unrolled: 1-line block ×7, first 2 shown]
	ds_write2_b32 v49, v0, v8 offset1:30
	ds_write2_b32 v49, v9, v10 offset0:60 offset1:90
	ds_write2_b32 v49, v1, v2 offset0:120 offset1:150
	ds_write_b32 v49, v3 offset:720
	s_waitcnt lgkmcnt(0)
	s_barrier
	buffer_gl0_inv
	ds_read2_b32 v[0:1], v33 offset1:210
	ds_read2_b32 v[2:3], v6 offset0:36 offset1:246
	ds_read2_b32 v[4:5], v7 offset0:8 offset1:218
	ds_read_b32 v8, v33 offset:5040
	s_waitcnt lgkmcnt(3)
	v_lshrrev_b32_e32 v9, 16, v1
	s_waitcnt lgkmcnt(2)
	v_lshrrev_b32_e32 v10, 16, v2
	v_lshrrev_b32_e32 v11, 16, v3
	v_mul_f16_sdwa v22, v12, v1 dst_sel:DWORD dst_unused:UNUSED_PAD src0_sel:WORD_1 src1_sel:DWORD
	s_waitcnt lgkmcnt(1)
	v_lshrrev_b32_e32 v23, 16, v4
	v_mul_f16_sdwa v21, v12, v9 dst_sel:DWORD dst_unused:UNUSED_PAD src0_sel:WORD_1 src1_sel:DWORD
	v_lshrrev_b32_e32 v24, 16, v5
	s_waitcnt lgkmcnt(0)
	v_lshrrev_b32_e32 v27, 16, v8
	v_mul_f16_sdwa v28, v14, v3 dst_sel:DWORD dst_unused:UNUSED_PAD src0_sel:WORD_1 src1_sel:DWORD
	v_mul_f16_sdwa v29, v15, v23 dst_sel:DWORD dst_unused:UNUSED_PAD src0_sel:WORD_1 src1_sel:DWORD
	v_fmac_f16_e32 v21, v12, v1
	v_fma_f16 v1, v12, v9, -v22
	v_mul_f16_sdwa v9, v13, v10 dst_sel:DWORD dst_unused:UNUSED_PAD src0_sel:WORD_1 src1_sel:DWORD
	v_mul_f16_sdwa v12, v13, v2 dst_sel:DWORD dst_unused:UNUSED_PAD src0_sel:WORD_1 src1_sel:DWORD
	;; [unrolled: 1-line block ×3, first 2 shown]
	v_fmac_f16_e32 v29, v15, v4
	v_mul_f16_sdwa v4, v15, v4 dst_sel:DWORD dst_unused:UNUSED_PAD src0_sel:WORD_1 src1_sel:DWORD
	v_fmac_f16_e32 v9, v13, v2
	v_fma_f16 v2, v13, v10, -v12
	v_fmac_f16_e32 v22, v14, v3
	v_fma_f16 v3, v14, v11, -v28
	v_mul_f16_sdwa v10, v26, v27 dst_sel:DWORD dst_unused:UNUSED_PAD src0_sel:WORD_1 src1_sel:DWORD
	v_mul_f16_sdwa v11, v26, v8 dst_sel:DWORD dst_unused:UNUSED_PAD src0_sel:WORD_1 src1_sel:DWORD
	;; [unrolled: 1-line block ×4, first 2 shown]
	v_fma_f16 v4, v15, v23, -v4
	v_fmac_f16_e32 v10, v26, v8
	v_fma_f16 v8, v26, v27, -v11
	v_fmac_f16_e32 v12, v25, v5
	v_fma_f16 v5, v25, v24, -v13
	v_sub_f16_e32 v15, v29, v22
	v_add_f16_e32 v11, v21, v10
	v_add_f16_e32 v13, v1, v8
	v_sub_f16_e32 v1, v1, v8
	v_add_f16_e32 v8, v9, v12
	v_add_f16_e32 v14, v2, v5
	v_sub_f16_e32 v10, v21, v10
	v_sub_f16_e32 v9, v9, v12
	;; [unrolled: 1-line block ×3, first 2 shown]
	v_add_f16_e32 v5, v22, v29
	v_add_f16_e32 v12, v3, v4
	v_sub_f16_e32 v3, v4, v3
	v_add_f16_e32 v4, v8, v11
	v_add_f16_e32 v21, v14, v13
	v_sub_f16_e32 v22, v8, v11
	v_sub_f16_e32 v23, v14, v13
	;; [unrolled: 1-line block ×6, first 2 shown]
	v_add_f16_e32 v24, v15, v9
	v_add_f16_e32 v25, v3, v2
	v_sub_f16_e32 v26, v15, v9
	v_sub_f16_e32 v27, v3, v2
	v_add_f16_e32 v4, v5, v4
	v_add_f16_e32 v5, v12, v21
	v_sub_f16_e32 v9, v9, v10
	v_sub_f16_e32 v2, v2, v1
	v_sub_f16_e32 v15, v10, v15
	v_sub_f16_e32 v3, v1, v3
	v_add_f16_e32 v10, v24, v10
	v_add_f16_e32 v1, v25, v1
	;; [unrolled: 1-line block ×3, first 2 shown]
	v_add_f16_sdwa v0, v0, v5 dst_sel:DWORD dst_unused:UNUSED_PAD src0_sel:WORD_1 src1_sel:DWORD
	v_mul_f16_e32 v11, 0x3a52, v11
	v_mul_f16_e32 v13, 0x3a52, v13
	;; [unrolled: 1-line block ×8, first 2 shown]
	v_fmamk_f16 v4, v4, 0xbcab, v12
	v_fmamk_f16 v5, v5, 0xbcab, v0
	;; [unrolled: 1-line block ×4, first 2 shown]
	v_fma_f16 v21, v22, 0x39e0, -v21
	v_fma_f16 v24, v23, 0x39e0, -v24
	;; [unrolled: 1-line block ×4, first 2 shown]
	v_fmamk_f16 v22, v15, 0xb574, v25
	v_fmamk_f16 v23, v3, 0xb574, v26
	v_fma_f16 v9, v9, 0xbb00, -v25
	v_fma_f16 v2, v2, 0xbb00, -v26
	v_fma_f16 v15, v15, 0x3574, -v27
	v_fma_f16 v3, v3, 0x3574, -v28
	v_add_f16_e32 v8, v8, v4
	v_add_f16_e32 v14, v14, v5
	v_fmac_f16_e32 v22, 0xb70e, v10
	v_fmac_f16_e32 v23, 0xb70e, v1
	v_add_f16_e32 v21, v21, v4
	v_add_f16_e32 v24, v24, v5
	;; [unrolled: 1-line block ×4, first 2 shown]
	v_fmac_f16_e32 v9, 0xb70e, v10
	v_fmac_f16_e32 v3, 0xb70e, v1
	;; [unrolled: 1-line block ×4, first 2 shown]
	v_add_f16_e32 v1, v23, v8
	v_sub_f16_e32 v10, v14, v22
	v_add_f16_e32 v11, v3, v4
	v_sub_f16_e32 v13, v5, v15
	v_sub_f16_e32 v25, v21, v2
	v_add_f16_e32 v26, v9, v24
	v_add_f16_e32 v2, v2, v21
	v_sub_f16_e32 v9, v24, v9
	v_sub_f16_e32 v3, v4, v3
	v_add_f16_e32 v4, v15, v5
	v_sub_f16_e32 v5, v8, v23
	v_add_f16_e32 v8, v22, v14
	v_pack_b32_f16 v0, v12, v0
	v_pack_b32_f16 v1, v1, v10
	;; [unrolled: 1-line block ×7, first 2 shown]
	ds_write2_b32 v33, v0, v1 offset1:210
	ds_write2_b32 v6, v10, v11 offset0:36 offset1:246
	ds_write2_b32 v7, v2, v3 offset0:8 offset1:218
	ds_write_b32 v33, v4 offset:5040
	s_waitcnt lgkmcnt(0)
	s_barrier
	buffer_gl0_inv
	ds_read2_b32 v[0:1], v33 offset1:210
	s_waitcnt lgkmcnt(0)
	v_lshrrev_b32_e32 v4, 16, v0
	v_mul_f16_sdwa v2, v40, v4 dst_sel:DWORD dst_unused:UNUSED_PAD src0_sel:WORD_1 src1_sel:DWORD
	v_fmac_f16_e32 v2, v40, v0
	v_mul_f16_sdwa v0, v40, v0 dst_sel:DWORD dst_unused:UNUSED_PAD src0_sel:WORD_1 src1_sel:DWORD
	v_cvt_f32_f16_e32 v2, v2
	v_fma_f16 v0, v40, v4, -v0
	v_cvt_f64_f32_e32 v[2:3], v2
	v_cvt_f32_f16_e32 v0, v0
	v_cvt_f64_f32_e32 v[4:5], v0
	v_add_nc_u32_e32 v0, 0xb00, v33
	ds_read2_b32 v[6:7], v0 offset0:31 offset1:241
	v_mul_f64 v[2:3], v[2:3], s[4:5]
	v_mul_f64 v[4:5], v[4:5], s[4:5]
	s_waitcnt lgkmcnt(0)
	v_lshrrev_b32_e32 v14, 16, v6
	v_mul_f16_sdwa v13, v39, v14 dst_sel:DWORD dst_unused:UNUSED_PAD src0_sel:WORD_1 src1_sel:DWORD
	v_fmac_f16_e32 v13, v39, v6
	v_mul_f16_sdwa v6, v39, v6 dst_sel:DWORD dst_unused:UNUSED_PAD src0_sel:WORD_1 src1_sel:DWORD
	v_and_or_b32 v2, 0x1ff, v3, v2
	v_bfe_u32 v8, v3, 20, 11
	v_fma_f16 v6, v39, v14, -v6
	v_cmp_ne_u32_e64 s0, 0, v2
	v_lshrrev_b32_e32 v2, 8, v3
	v_and_or_b32 v4, 0x1ff, v5, v4
	v_lshrrev_b32_e32 v11, 8, v5
	v_bfe_u32 v12, v5, 20, 11
	v_cndmask_b32_e64 v0, 0, 1, s0
	v_add_nc_u32_e32 v15, 0xfffffc10, v8
	v_cmp_ne_u32_e64 s0, 0, v4
	v_cvt_f32_f16_e32 v6, v6
	v_lshrrev_b32_e32 v5, 16, v5
	v_and_or_b32 v2, 0xffe, v2, v0
	v_sub_nc_u32_e32 v0, 0x3f1, v8
	v_cndmask_b32_e64 v4, 0, 1, s0
	v_or_b32_e32 v9, 0x1000, v2
	v_med3_i32 v0, v0, 0, 13
	v_and_or_b32 v4, 0xffe, v11, v4
	v_sub_nc_u32_e32 v11, 0x3f1, v12
	v_lshrrev_b32_e32 v10, v0, v9
	v_or_b32_e32 v21, 0x1000, v4
	v_med3_i32 v22, v11, 0, 13
	v_cvt_f32_f16_e32 v11, v13
	v_lshl_or_b32 v13, v15, 12, v2
	v_lshlrev_b32_e32 v0, v0, v10
	v_lshrrev_b32_e32 v23, v22, v21
	v_cmp_ne_u32_e64 s0, v0, v9
	v_mad_u64_u32 v[8:9], null, s10, v20, 0
	v_cndmask_b32_e64 v0, 0, 1, s0
	v_cmp_gt_i32_e64 s0, 1, v15
	v_or_b32_e32 v0, v10, v0
	v_cvt_f64_f32_e32 v[10:11], v11
	v_cndmask_b32_e64 v24, v13, v0, s0
	v_lshlrev_b32_e32 v13, v22, v23
	v_mov_b32_e32 v0, v9
	v_add_nc_u32_e32 v22, 0xfffffc10, v12
	v_and_b32_e32 v9, 7, v24
	v_cmp_ne_u32_e64 s0, v13, v21
	v_mad_u64_u32 v[12:13], null, s11, v20, v[0:1]
	v_lshrrev_b32_e32 v20, 2, v24
	v_cmp_eq_u32_e64 s1, 3, v9
	v_cndmask_b32_e64 v21, 0, 1, s0
	v_cmp_lt_i32_e64 s0, 5, v9
	v_lshl_or_b32 v13, v22, 12, v4
	v_cmp_gt_i32_e64 s2, 1, v22
	v_or_b32_e32 v0, v23, v21
	s_or_b32 s0, s1, s0
	v_mul_f64 v[9:10], v[10:11], s[4:5]
	v_add_co_ci_u32_e64 v11, s0, 0, v20, s0
	v_cndmask_b32_e64 v0, v13, v0, s2
	v_cmp_ne_u32_e64 s0, 0, v2
	v_cmp_eq_u32_e64 s2, 0x40f, v15
	v_and_b32_e32 v13, 7, v0
	v_cndmask_b32_e64 v2, 0, 1, s0
	v_cmp_gt_i32_e64 s0, 31, v15
	v_lshrrev_b32_e32 v0, 2, v0
	v_cmp_eq_u32_e64 s1, 3, v13
	v_lshl_or_b32 v2, v2, 9, 0x7c00
	v_cndmask_b32_e64 v11, 0x7c00, v11, s0
	v_cmp_lt_i32_e64 s0, 5, v13
	v_cvt_f64_f32_e32 v[13:14], v6
	v_cndmask_b32_e64 v6, v11, v2, s2
	s_or_b32 s0, s1, s0
	v_lshrrev_b32_e32 v11, 16, v3
	v_add_co_ci_u32_e64 v0, s0, 0, v0, s0
	v_cmp_ne_u32_e64 s0, 0, v4
	v_and_or_b32 v4, 0x1ff, v10, v9
	v_lshrrev_b32_e32 v15, 8, v10
	v_bfe_u32 v20, v10, 20, 11
	v_and_or_b32 v6, 0x8000, v11, v6
	v_cndmask_b32_e64 v2, 0, 1, s0
	v_cmp_gt_i32_e64 s0, 31, v22
	v_lshrrev_b32_e32 v10, 16, v10
	v_sub_nc_u32_e32 v21, 0x3f1, v20
	v_and_b32_e32 v6, 0xffff, v6
	v_lshl_or_b32 v9, v2, 9, 0x7c00
	v_cndmask_b32_e64 v0, 0x7c00, v0, s0
	v_cmp_ne_u32_e64 s0, 0, v4
	v_mad_u64_u32 v[2:3], null, s8, v38, 0
	v_mul_f64 v[13:14], v[13:14], s[4:5]
	v_cndmask_b32_e64 v4, 0, 1, s0
	v_cmp_eq_u32_e64 s0, 0x40f, v22
	v_lshrrev_b32_e32 v22, 16, v1
	v_and_or_b32 v15, 0xffe, v15, v4
	v_cndmask_b32_e64 v9, v0, v9, s0
	v_mov_b32_e32 v0, v3
	v_mul_f16_sdwa v11, v37, v22 dst_sel:DWORD dst_unused:UNUSED_PAD src0_sel:WORD_1 src1_sel:DWORD
	v_and_or_b32 v5, 0x8000, v5, v9
	v_mad_u64_u32 v[3:4], null, s9, v38, v[0:1]
	v_or_b32_e32 v0, 0x1000, v15
	v_med3_i32 v4, v21, 0, 13
	v_mov_b32_e32 v9, v12
	v_fmac_f16_e32 v11, v37, v1
	v_lshl_or_b32 v6, v5, 16, v6
	v_mul_f16_sdwa v1, v37, v1 dst_sel:DWORD dst_unused:UNUSED_PAD src0_sel:WORD_1 src1_sel:DWORD
	v_lshrrev_b32_e32 v21, v4, v0
	v_lshlrev_b64 v[2:3], 2, v[2:3]
	v_fma_f16 v1, v37, v22, -v1
	v_lshlrev_b32_e32 v12, v4, v21
	v_lshlrev_b64 v[4:5], 2, v[8:9]
	v_and_or_b32 v8, 0x1ff, v14, v13
	v_cvt_f32_f16_e32 v9, v11
	v_add_nc_u32_e32 v11, 0xfffffc10, v20
	v_cmp_ne_u32_e64 s0, v12, v0
	v_lshrrev_b32_e32 v13, 8, v14
	v_bfe_u32 v20, v14, 20, 11
	v_cvt_f32_f16_e32 v1, v1
	v_cndmask_b32_e64 v0, 0, 1, s0
	v_cmp_ne_u32_e64 s0, 0, v8
	v_cvt_f64_f32_e32 v[8:9], v9
	v_or_b32_e32 v0, v21, v0
	v_cndmask_b32_e64 v12, 0, 1, s0
	v_add_co_u32 v4, s0, s6, v4
	v_add_co_ci_u32_e64 v5, s0, s7, v5, s0
	v_lshl_or_b32 v21, v11, 12, v15
	v_and_or_b32 v12, 0xffe, v13, v12
	v_sub_nc_u32_e32 v13, 0x3f1, v20
	v_cmp_gt_i32_e64 s0, 1, v11
	v_med3_i32 v13, v13, 0, 13
	v_cndmask_b32_e64 v0, v21, v0, s0
	v_or_b32_e32 v21, 0x1000, v12
	v_add_co_u32 v2, s0, v4, v2
	v_add_co_ci_u32_e64 v3, s0, v5, v3, s0
	v_lshrrev_b32_e32 v23, v13, v21
	v_and_b32_e32 v24, 7, v0
	v_mul_f64 v[4:5], v[8:9], s[4:5]
	global_store_dword v[2:3], v6, off
	v_lshrrev_b32_e32 v0, 2, v0
	v_lshlrev_b32_e32 v6, v13, v23
	v_cmp_lt_i32_e64 s0, 5, v24
	v_cmp_eq_u32_e64 s1, 3, v24
	v_add_nc_u32_e32 v8, 0xfffffc10, v20
	v_cmp_ne_u32_e64 s2, v6, v21
	s_or_b32 s0, s1, s0
	v_lshl_or_b32 v13, v8, 12, v12
	v_add_co_ci_u32_e64 v9, s0, 0, v0, s0
	v_cndmask_b32_e64 v6, 0, 1, s2
	v_cmp_ne_u32_e64 s0, 0, v15
	v_cvt_f64_f32_e32 v[0:1], v1
	s_mul_hi_u32 s2, s8, 0x2df
	v_or_b32_e32 v6, v23, v6
	v_cndmask_b32_e64 v15, 0, 1, s0
	v_cmp_gt_i32_e64 s0, 1, v8
	v_and_or_b32 v4, 0x1ff, v5, v4
	v_lshrrev_b32_e32 v20, 8, v5
	v_bfe_u32 v21, v5, 20, 11
	v_lshrrev_b32_e32 v5, 16, v5
	v_cndmask_b32_e64 v6, v13, v6, s0
	v_cmp_gt_i32_e64 s0, 31, v11
	v_lshl_or_b32 v13, v15, 9, 0x7c00
	v_and_b32_e32 v15, 7, v6
	v_cndmask_b32_e64 v9, 0x7c00, v9, s0
	v_cmp_ne_u32_e64 s0, 0, v4
	v_lshrrev_b32_e32 v6, 2, v6
	v_cmp_eq_u32_e64 s1, 3, v15
	v_cndmask_b32_e64 v4, 0, 1, s0
	v_cmp_eq_u32_e64 s0, 0x40f, v11
	v_mul_f64 v[0:1], v[0:1], s[4:5]
	v_sub_nc_u32_e32 v11, 0x3f1, v21
	v_and_or_b32 v4, 0xffe, v20, v4
	v_cndmask_b32_e64 v9, v9, v13, s0
	v_cmp_lt_i32_e64 s0, 5, v15
	v_med3_i32 v11, v11, 0, 13
	v_lshrrev_b32_e32 v15, 16, v7
	v_or_b32_e32 v13, 0x1000, v4
	v_and_or_b32 v10, 0x8000, v10, v9
	s_or_b32 s0, s1, s0
	s_mul_i32 s1, s9, 0x2df
	v_add_co_ci_u32_e64 v6, s0, 0, v6, s0
	v_cmp_ne_u32_e64 s0, 0, v12
	v_lshrrev_b32_e32 v22, v11, v13
	v_mul_f16_sdwa v20, v36, v15 dst_sel:DWORD dst_unused:UNUSED_PAD src0_sel:WORD_1 src1_sel:DWORD
	v_and_b32_e32 v10, 0xffff, v10
	s_add_i32 s3, s2, s1
	v_cndmask_b32_e64 v12, 0, 1, s0
	v_cmp_gt_i32_e64 s0, 31, v8
	v_lshlrev_b32_e32 v11, v11, v22
	v_fmac_f16_e32 v20, v36, v7
	v_and_or_b32 v0, 0x1ff, v1, v0
	v_lshl_or_b32 v12, v12, 9, 0x7c00
	v_cndmask_b32_e64 v6, 0x7c00, v6, s0
	v_cmp_eq_u32_e64 s0, 0x40f, v8
	v_cvt_f32_f16_e32 v8, v20
	v_lshrrev_b32_e32 v20, 8, v1
	v_mul_f16_sdwa v7, v36, v7 dst_sel:DWORD dst_unused:UNUSED_PAD src0_sel:WORD_1 src1_sel:DWORD
	s_mul_i32 s2, s8, 0x2df
	v_cndmask_b32_e64 v6, v6, v12, s0
	v_cmp_ne_u32_e64 s0, v11, v13
	v_add_nc_u32_e32 v12, 0xfffffc10, v21
	v_cvt_f64_f32_e32 v[8:9], v8
	v_lshrrev_b32_e32 v13, 16, v14
	v_bfe_u32 v21, v1, 20, 11
	v_cndmask_b32_e64 v11, 0, 1, s0
	v_cmp_ne_u32_e64 s0, 0, v0
	v_lshl_or_b32 v14, v12, 12, v4
	v_and_or_b32 v6, 0x8000, v13, v6
	s_lshl_b64 s[10:11], s[2:3], 2
	v_or_b32_e32 v11, v22, v11
	v_cndmask_b32_e64 v0, 0, 1, s0
	v_cmp_gt_i32_e64 s0, 1, v12
	s_mul_hi_u32 s2, s8, 0xfffffdf3
	v_and_or_b32 v0, 0xffe, v20, v0
	v_cndmask_b32_e64 v11, v14, v11, s0
	v_sub_nc_u32_e32 v14, 0x3f1, v21
	v_or_b32_e32 v20, 0x1000, v0
	v_and_b32_e32 v13, 7, v11
	v_med3_i32 v14, v14, 0, 13
	v_mul_f64 v[8:9], v[8:9], s[4:5]
	v_cmp_lt_i32_e64 s0, 5, v13
	v_cmp_eq_u32_e64 s1, 3, v13
	v_lshl_or_b32 v13, v6, 16, v10
	v_lshrrev_b32_e32 v6, 2, v11
	v_lshrrev_b32_e32 v22, v14, v20
	v_add_nc_u32_e32 v11, 0xfffffc10, v21
	s_or_b32 s0, s1, s0
	v_add_co_ci_u32_e64 v6, s0, 0, v6, s0
	v_lshlrev_b32_e32 v10, v14, v22
	v_cmp_ne_u32_e64 s0, 0, v4
	v_cndmask_b32_e64 v4, 0, 1, s0
	v_cmp_ne_u32_e64 s0, v10, v20
	v_and_or_b32 v8, 0x1ff, v9, v8
	v_lshrrev_b32_e32 v20, 8, v9
	v_lshl_or_b32 v4, v4, 9, 0x7c00
	v_cndmask_b32_e64 v10, 0, 1, s0
	v_cmp_gt_i32_e64 s0, 31, v12
	v_bfe_u32 v21, v9, 20, 11
	v_cndmask_b32_e64 v14, 0x7c00, v6, s0
	v_fma_f16 v6, v36, v15, -v7
	v_or_b32_e32 v7, v22, v10
	v_lshl_or_b32 v10, v11, 12, v0
	v_cmp_gt_i32_e64 s0, 1, v11
	ds_read_b32 v15, v33 offset:1680
	v_cvt_f32_f16_e32 v6, v6
	v_cndmask_b32_e64 v10, v10, v7, s0
	v_cmp_ne_u32_e64 s0, 0, v8
	v_cvt_f64_f32_e32 v[6:7], v6
	v_and_b32_e32 v22, 7, v10
	v_cndmask_b32_e64 v8, 0, 1, s0
	v_cmp_eq_u32_e64 s0, 0x40f, v12
	v_lshrrev_b32_e32 v10, 2, v10
	v_sub_nc_u32_e32 v12, 0x3f1, v21
	v_cmp_eq_u32_e64 s1, 3, v22
	v_and_or_b32 v8, 0xffe, v20, v8
	ds_read_b32 v20, v33 offset:4620
	v_cndmask_b32_e64 v4, v14, v4, s0
	v_cmp_lt_i32_e64 s0, 5, v22
	v_med3_i32 v12, v12, 0, 13
	v_or_b32_e32 v14, 0x1000, v8
	s_waitcnt lgkmcnt(1)
	v_lshrrev_b32_e32 v22, 16, v15
	v_and_or_b32 v4, 0x8000, v5, v4
	s_or_b32 s0, s1, s0
	s_mul_i32 s1, s9, 0xfffffdf3
	v_add_co_ci_u32_e64 v10, s0, 0, v10, s0
	v_cmp_ne_u32_e64 s0, 0, v0
	v_mul_f64 v[6:7], v[6:7], s[4:5]
	v_lshrrev_b32_e32 v23, v12, v14
	v_mul_f16_sdwa v24, v35, v22 dst_sel:DWORD dst_unused:UNUSED_PAD src0_sel:WORD_1 src1_sel:DWORD
	v_and_b32_e32 v4, 0xffff, v4
	v_cndmask_b32_e64 v0, 0, 1, s0
	v_cmp_gt_i32_e64 s0, 31, v11
	v_lshlrev_b32_e32 v12, v12, v23
	v_fmac_f16_e32 v24, v35, v15
	v_lshl_or_b32 v0, v0, 9, 0x7c00
	v_cndmask_b32_e64 v10, 0x7c00, v10, s0
	v_cmp_eq_u32_e64 s0, 0x40f, v11
	v_lshrrev_b32_e32 v11, 16, v1
	v_cndmask_b32_e64 v10, v10, v0, s0
	v_cmp_ne_u32_e64 s0, v12, v14
	v_cvt_f32_f16_e32 v0, v24
	v_add_nc_u32_e32 v14, 0xfffffc10, v21
	v_and_or_b32 v5, 0x8000, v11, v10
	v_cndmask_b32_e64 v12, 0, 1, s0
	v_cvt_f64_f32_e32 v[0:1], v0
	v_add_co_u32 v2, s0, v2, s10
	v_add_co_ci_u32_e64 v3, s0, s11, v3, s0
	v_or_b32_e32 v10, v23, v12
	v_lshl_or_b32 v11, v14, 12, v8
	v_and_or_b32 v6, 0x1ff, v7, v6
	v_cmp_gt_i32_e64 s0, 1, v14
	v_bfe_u32 v12, v7, 20, 11
	v_cndmask_b32_e64 v10, v11, v10, s0
	v_cmp_ne_u32_e64 s0, 0, v6
	v_lshrrev_b32_e32 v11, 8, v7
	v_and_b32_e32 v21, 7, v10
	v_cndmask_b32_e64 v6, 0, 1, s0
	s_sub_i32 s0, s2, s8
	v_lshrrev_b32_e32 v10, 2, v10
	s_add_i32 s3, s0, s1
	v_cmp_lt_i32_e64 s0, 5, v21
	v_and_or_b32 v6, 0xffe, v11, v6
	v_sub_nc_u32_e32 v11, 0x3f1, v12
	v_cmp_eq_u32_e64 s1, 3, v21
	v_mul_f64 v[0:1], v[0:1], s[4:5]
	v_lshl_or_b32 v21, v5, 16, v4
	v_or_b32_e32 v23, 0x1000, v6
	v_med3_i32 v11, v11, 0, 13
	s_or_b32 s0, s1, s0
	v_add_nc_u32_e32 v12, 0xfffffc10, v12
	v_add_co_ci_u32_e64 v5, s0, 0, v10, s0
	v_lshrrev_b32_e32 v4, v11, v23
	v_cmp_ne_u32_e64 s0, 0, v8
	s_mul_i32 s2, s8, 0xfffffdf3
	s_lshl_b64 s[8:9], s[2:3], 2
	v_lshlrev_b32_e32 v10, v11, v4
	v_cndmask_b32_e64 v8, 0, 1, s0
	v_cmp_gt_i32_e64 s0, 31, v14
	v_mul_f16_sdwa v11, v35, v15 dst_sel:DWORD dst_unused:UNUSED_PAD src0_sel:WORD_1 src1_sel:DWORD
	v_lshl_or_b32 v8, v8, 9, 0x7c00
	v_cndmask_b32_e64 v5, 0x7c00, v5, s0
	v_cmp_ne_u32_e64 s0, v10, v23
	v_and_or_b32 v0, 0x1ff, v1, v0
	v_fma_f16 v11, v35, v22, -v11
	v_bfe_u32 v15, v1, 20, 11
	s_waitcnt lgkmcnt(0)
	v_lshrrev_b32_e32 v22, 16, v20
	v_cndmask_b32_e64 v10, 0, 1, s0
	v_cmp_eq_u32_e64 s0, 0x40f, v14
	v_mul_f16_sdwa v26, v34, v22 dst_sel:DWORD dst_unused:UNUSED_PAD src0_sel:WORD_1 src1_sel:DWORD
	v_cndmask_b32_e64 v14, v5, v8, s0
	v_cmp_ne_u32_e64 s0, 0, v0
	v_or_b32_e32 v8, v4, v10
	v_cvt_f32_f16_e32 v4, v11
	v_lshl_or_b32 v10, v12, 12, v6
	v_lshrrev_b32_e32 v11, 8, v1
	v_cndmask_b32_e64 v0, 0, 1, s0
	v_cmp_gt_i32_e64 s0, 1, v12
	v_cvt_f64_f32_e32 v[4:5], v4
	v_fmac_f16_e32 v26, v34, v20
	v_mul_f16_sdwa v20, v34, v20 dst_sel:DWORD dst_unused:UNUSED_PAD src0_sel:WORD_1 src1_sel:DWORD
	v_and_or_b32 v0, 0xffe, v11, v0
	v_cndmask_b32_e64 v10, v10, v8, s0
	v_sub_nc_u32_e32 v8, 0x3f1, v15
	v_lshrrev_b32_e32 v11, 16, v9
	v_add_nc_u32_e32 v15, 0xfffffc10, v15
	v_or_b32_e32 v24, 0x1000, v0
	v_and_b32_e32 v23, 7, v10
	v_med3_i32 v25, v8, 0, 13
	v_add_co_u32 v8, s0, v2, s8
	v_add_co_ci_u32_e64 v9, s0, s9, v3, s0
	v_lshrrev_b32_e32 v27, v25, v24
	v_cmp_lt_i32_e64 s0, 5, v23
	v_cmp_eq_u32_e64 s1, 3, v23
	v_lshrrev_b32_e32 v10, 2, v10
	v_and_or_b32 v14, 0x8000, v11, v14
	v_lshlrev_b32_e32 v23, v25, v27
	v_cvt_f32_f16_e32 v11, v26
	s_or_b32 s0, s1, s0
	v_mul_f64 v[4:5], v[4:5], s[4:5]
	v_add_co_ci_u32_e64 v25, s0, 0, v10, s0
	v_cmp_ne_u32_e64 s0, v23, v24
	v_cvt_f64_f32_e32 v[10:11], v11
	v_lshl_or_b32 v24, v15, 12, v0
	v_fma_f16 v20, v34, v22, -v20
	v_and_b32_e32 v14, 0xffff, v14
	v_cndmask_b32_e64 v23, 0, 1, s0
	v_cmp_ne_u32_e64 s0, 0, v6
	v_lshrrev_b32_e32 v1, 16, v1
	v_cvt_f32_f16_e32 v20, v20
	v_or_b32_e32 v23, v27, v23
	v_cndmask_b32_e64 v6, 0, 1, s0
	v_cmp_gt_i32_e64 s0, 31, v12
	v_lshl_or_b32 v6, v6, 9, 0x7c00
	v_cndmask_b32_e64 v22, 0x7c00, v25, s0
	v_cmp_gt_i32_e64 s0, 1, v15
	v_and_or_b32 v4, 0x1ff, v5, v4
	v_bfe_u32 v25, v5, 20, 11
	v_cndmask_b32_e64 v23, v24, v23, s0
	v_cmp_eq_u32_e64 s0, 0x40f, v12
	v_mul_f64 v[10:11], v[10:11], s[4:5]
	v_lshrrev_b32_e32 v24, 8, v5
	v_lshrrev_b32_e32 v5, 16, v5
	v_cndmask_b32_e64 v12, v22, v6, s0
	v_lshrrev_b32_e32 v22, 16, v7
	v_cvt_f64_f32_e32 v[6:7], v20
	v_cmp_ne_u32_e64 s0, 0, v4
	v_and_b32_e32 v20, 7, v23
	v_and_or_b32 v12, 0x8000, v22, v12
	v_sub_nc_u32_e32 v22, 0x3f1, v25
	v_cndmask_b32_e64 v4, 0, 1, s0
	v_cmp_lt_i32_e64 s0, 5, v20
	v_cmp_eq_u32_e64 s1, 3, v20
	v_lshl_or_b32 v12, v12, 16, v14
	v_lshrrev_b32_e32 v14, 2, v23
	v_and_or_b32 v4, 0xffe, v24, v4
	v_med3_i32 v22, v22, 0, 13
	s_or_b32 s0, s1, s0
	v_add_co_ci_u32_e64 v14, s0, 0, v14, s0
	v_or_b32_e32 v20, 0x1000, v4
	v_cmp_ne_u32_e64 s0, 0, v0
	v_and_or_b32 v10, 0x1ff, v11, v10
	v_lshrrev_b32_e32 v24, 8, v11
	v_bfe_u32 v26, v11, 20, 11
	v_lshrrev_b32_e32 v23, v22, v20
	v_cndmask_b32_e64 v0, 0, 1, s0
	v_cmp_gt_i32_e64 s0, 31, v15
	v_mul_f64 v[6:7], v[6:7], s[4:5]
	v_lshrrev_b32_e32 v11, 16, v11
	v_lshlrev_b32_e32 v22, v22, v23
	v_lshl_or_b32 v0, v0, 9, 0x7c00
	v_cndmask_b32_e64 v14, 0x7c00, v14, s0
	v_cmp_ne_u32_e64 s0, 0, v10
	v_cndmask_b32_e64 v10, 0, 1, s0
	v_cmp_ne_u32_e64 s0, v22, v20
	v_add_nc_u32_e32 v22, 0xfffffc10, v25
	v_and_or_b32 v10, 0xffe, v24, v10
	v_cndmask_b32_e64 v20, 0, 1, s0
	v_sub_nc_u32_e32 v24, 0x3f1, v26
	v_cmp_eq_u32_e64 s0, 0x40f, v15
	v_lshl_or_b32 v15, v22, 12, v4
	v_and_or_b32 v6, 0x1ff, v7, v6
	v_cndmask_b32_e64 v0, v14, v0, s0
	v_or_b32_e32 v14, v23, v20
	v_or_b32_e32 v20, 0x1000, v10
	v_med3_i32 v23, v24, 0, 13
	v_cmp_gt_i32_e64 s0, 1, v22
	v_lshrrev_b32_e32 v24, 8, v7
	v_bfe_u32 v25, v7, 20, 11
	v_and_or_b32 v0, 0x8000, v1, v0
	v_cndmask_b32_e64 v14, v15, v14, s0
	v_lshrrev_b32_e32 v15, v23, v20
	v_cmp_ne_u32_e64 s0, 0, v6
	v_and_b32_e32 v0, 0xffff, v0
	v_and_b32_e32 v27, 7, v14
	v_lshlrev_b32_e32 v23, v23, v15
	v_cndmask_b32_e64 v6, 0, 1, s0
	v_lshrrev_b32_e32 v14, 2, v14
	v_cmp_lt_i32_e64 s0, 5, v27
	v_cmp_ne_u32_e64 s1, v23, v20
	v_and_or_b32 v1, 0xffe, v24, v6
	v_sub_nc_u32_e32 v6, 0x3f1, v25
	v_add_nc_u32_e32 v24, 0xfffffc10, v26
	v_cndmask_b32_e64 v20, 0, 1, s1
	v_cmp_eq_u32_e64 s1, 3, v27
	v_or_b32_e32 v23, 0x1000, v1
	v_med3_i32 v6, v6, 0, 13
	v_lshl_or_b32 v26, v24, 12, v10
	v_or_b32_e32 v15, v15, v20
	s_or_b32 s0, s1, s0
	v_add_co_ci_u32_e64 v14, s0, 0, v14, s0
	v_lshrrev_b32_e32 v20, v6, v23
	v_cmp_gt_i32_e64 s0, 1, v24
	v_lshlrev_b32_e32 v6, v6, v20
	v_cndmask_b32_e64 v15, v26, v15, s0
	v_cmp_ne_u32_e64 s0, 0, v4
	v_cndmask_b32_e64 v4, 0, 1, s0
	v_cmp_ne_u32_e64 s0, v6, v23
	v_add_nc_u32_e32 v23, 0xfffffc10, v25
	v_and_b32_e32 v25, 7, v15
	v_lshl_or_b32 v4, v4, 9, 0x7c00
	v_cndmask_b32_e64 v6, 0, 1, s0
	v_cmp_gt_i32_e64 s0, 31, v22
	v_cmp_gt_i32_e64 s2, 1, v23
	v_cmp_eq_u32_e64 s1, 3, v25
	v_or_b32_e32 v6, v20, v6
	v_lshl_or_b32 v20, v23, 12, v1
	v_cndmask_b32_e64 v14, 0x7c00, v14, s0
	v_cmp_lt_i32_e64 s0, 5, v25
	v_cndmask_b32_e64 v6, v20, v6, s2
	v_cmp_eq_u32_e64 s2, 0x40f, v22
	s_or_b32 s0, s1, s0
	v_cndmask_b32_e64 v4, v14, v4, s2
	v_lshrrev_b32_e32 v14, 2, v15
	v_and_b32_e32 v15, 7, v6
	v_lshrrev_b32_e32 v6, 2, v6
	v_cmp_gt_i32_e64 s2, 31, v24
	v_add_co_ci_u32_e64 v14, s0, 0, v14, s0
	v_cmp_ne_u32_e64 s0, 0, v10
	v_cmp_eq_u32_e64 s1, 3, v15
	v_cndmask_b32_e64 v14, 0x7c00, v14, s2
	v_cndmask_b32_e64 v10, 0, 1, s0
	v_cmp_lt_i32_e64 s0, 5, v15
	v_lshl_or_b32 v10, v10, 9, 0x7c00
	s_or_b32 s0, s1, s0
	v_add_co_ci_u32_e64 v6, s0, 0, v6, s0
	v_cmp_ne_u32_e64 s0, 0, v1
	v_cndmask_b32_e64 v1, 0, 1, s0
	v_cmp_eq_u32_e64 s0, 0x40f, v24
	v_lshl_or_b32 v1, v1, 9, 0x7c00
	v_cndmask_b32_e64 v10, v14, v10, s0
	v_cmp_gt_i32_e64 s0, 31, v23
	v_and_or_b32 v14, 0x8000, v5, v4
	v_and_or_b32 v10, 0x8000, v11, v10
	v_cndmask_b32_e64 v6, 0x7c00, v6, s0
	v_cmp_eq_u32_e64 s0, 0x40f, v23
	v_lshl_or_b32 v11, v14, 16, v0
	v_cndmask_b32_e64 v1, v6, v1, s0
	v_lshrrev_b32_e32 v6, 16, v7
	v_add_co_u32 v4, s0, v8, s10
	v_add_co_ci_u32_e64 v5, s0, s11, v9, s0
	v_and_or_b32 v0, 0x8000, v6, v1
	v_and_b32_e32 v1, 0xffff, v10
	v_add_co_u32 v6, s0, v4, s8
	v_add_co_ci_u32_e64 v7, s0, s9, v5, s0
	v_lshl_or_b32 v10, v0, 16, v1
	v_add_co_u32 v0, s0, v6, s10
	v_add_co_ci_u32_e64 v1, s0, s11, v7, s0
	global_store_dword v[2:3], v13, off
	global_store_dword v[8:9], v21, off
	;; [unrolled: 1-line block ×5, first 2 shown]
	s_and_b32 exec_lo, exec_lo, vcc_lo
	s_cbranch_execz .LBB0_31
; %bb.30:
	s_clause 0x1
	global_load_dword v2, v[16:17], off offset:472
	global_load_dword v4, v[18:19], off offset:1364
	ds_read_b32 v3, v33 offset:2520
	ds_read_b32 v5, v33 offset:5460
	s_waitcnt lgkmcnt(1)
	v_lshrrev_b32_e32 v6, 16, v3
	s_waitcnt lgkmcnt(0)
	v_lshrrev_b32_e32 v8, 16, v5
	s_waitcnt vmcnt(1)
	v_mul_f16_sdwa v7, v6, v2 dst_sel:DWORD dst_unused:UNUSED_PAD src0_sel:DWORD src1_sel:WORD_1
	v_mul_f16_sdwa v9, v3, v2 dst_sel:DWORD dst_unused:UNUSED_PAD src0_sel:DWORD src1_sel:WORD_1
	s_waitcnt vmcnt(0)
	v_mul_f16_sdwa v10, v8, v4 dst_sel:DWORD dst_unused:UNUSED_PAD src0_sel:DWORD src1_sel:WORD_1
	v_fmac_f16_e32 v7, v3, v2
	v_fma_f16 v2, v2, v6, -v9
	v_mul_f16_sdwa v6, v5, v4 dst_sel:DWORD dst_unused:UNUSED_PAD src0_sel:DWORD src1_sel:WORD_1
	v_fmac_f16_e32 v10, v5, v4
	v_cvt_f32_f16_e32 v3, v7
	v_cvt_f32_f16_e32 v5, v2
	v_fma_f16 v6, v4, v8, -v6
	v_cvt_f32_f16_e32 v7, v10
	v_cvt_f64_f32_e32 v[2:3], v3
	v_cvt_f64_f32_e32 v[4:5], v5
	v_cvt_f32_f16_e32 v8, v6
	v_cvt_f64_f32_e32 v[6:7], v7
	v_cvt_f64_f32_e32 v[8:9], v8
	v_mul_f64 v[2:3], v[2:3], s[4:5]
	v_mul_f64 v[4:5], v[4:5], s[4:5]
	;; [unrolled: 1-line block ×4, first 2 shown]
	v_and_or_b32 v2, 0x1ff, v3, v2
	v_and_or_b32 v4, 0x1ff, v5, v4
	v_lshrrev_b32_e32 v10, 8, v3
	v_and_or_b32 v6, 0x1ff, v7, v6
	v_bfe_u32 v11, v3, 20, 11
	v_cmp_ne_u32_e32 vcc_lo, 0, v2
	v_lshrrev_b32_e32 v12, 8, v5
	v_and_or_b32 v8, 0x1ff, v9, v8
	v_bfe_u32 v13, v5, 20, 11
	v_lshrrev_b32_e32 v14, 8, v7
	v_cndmask_b32_e64 v2, 0, 1, vcc_lo
	v_cmp_ne_u32_e32 vcc_lo, 0, v4
	v_bfe_u32 v15, v7, 20, 11
	v_bfe_u32 v17, v9, 20, 11
	v_sub_nc_u32_e32 v18, 0x3f1, v11
	v_and_or_b32 v2, 0xffe, v10, v2
	v_cndmask_b32_e64 v4, 0, 1, vcc_lo
	v_cmp_ne_u32_e32 vcc_lo, 0, v6
	v_add_nc_u32_e32 v11, 0xfffffc10, v11
	v_sub_nc_u32_e32 v19, 0x3f1, v13
	v_lshrrev_b32_e32 v16, 8, v9
	v_and_or_b32 v4, 0xffe, v12, v4
	v_cndmask_b32_e64 v6, 0, 1, vcc_lo
	v_cmp_ne_u32_e32 vcc_lo, 0, v8
	v_add_nc_u32_e32 v13, 0xfffffc10, v13
	v_sub_nc_u32_e32 v20, 0x3f1, v15
	v_sub_nc_u32_e32 v21, 0x3f1, v17
	v_med3_i32 v10, v18, 0, 13
	v_cndmask_b32_e64 v8, 0, 1, vcc_lo
	v_cmp_ne_u32_e32 vcc_lo, 0, v2
	v_med3_i32 v12, v19, 0, 13
	v_and_or_b32 v6, 0xffe, v14, v6
	v_or_b32_e32 v18, 0x1000, v2
	v_lshl_or_b32 v19, v11, 12, v2
	v_cndmask_b32_e64 v2, 0, 1, vcc_lo
	v_cmp_ne_u32_e32 vcc_lo, 0, v4
	v_add_nc_u32_e32 v15, 0xfffffc10, v15
	v_med3_i32 v14, v20, 0, 13
	v_and_or_b32 v8, 0xffe, v16, v8
	v_med3_i32 v16, v21, 0, 13
	v_or_b32_e32 v20, 0x1000, v4
	v_lshl_or_b32 v21, v13, 12, v4
	v_cndmask_b32_e64 v4, 0, 1, vcc_lo
	v_cmp_ne_u32_e32 vcc_lo, 0, v6
	v_lshrrev_b32_e32 v26, v10, v18
	v_add_nc_u32_e32 v17, 0xfffffc10, v17
	v_or_b32_e32 v22, 0x1000, v6
	v_lshl_or_b32 v23, v15, 12, v6
	v_cndmask_b32_e64 v6, 0, 1, vcc_lo
	v_cmp_ne_u32_e32 vcc_lo, 0, v8
	v_lshrrev_b32_e32 v27, v12, v20
	v_lshlrev_b32_e32 v10, v10, v26
	v_or_b32_e32 v24, 0x1000, v8
	v_lshl_or_b32 v25, v17, 12, v8
	v_cndmask_b32_e64 v8, 0, 1, vcc_lo
	v_lshrrev_b32_e32 v28, v14, v22
	v_lshlrev_b32_e32 v12, v12, v27
	v_cmp_ne_u32_e32 vcc_lo, v10, v18
	v_lshrrev_b32_e32 v29, v16, v24
	v_lshl_or_b32 v2, v2, 9, 0x7c00
	v_lshlrev_b32_e32 v14, v14, v28
	v_lshl_or_b32 v6, v6, 9, 0x7c00
	v_cndmask_b32_e64 v10, 0, 1, vcc_lo
	v_cmp_ne_u32_e32 vcc_lo, v12, v20
	v_lshlrev_b32_e32 v16, v16, v29
	v_lshl_or_b32 v4, v4, 9, 0x7c00
	v_lshrrev_b32_e32 v3, 16, v3
	v_or_b32_e32 v10, v26, v10
	v_cndmask_b32_e64 v12, 0, 1, vcc_lo
	v_cmp_ne_u32_e32 vcc_lo, v14, v22
	v_lshrrev_b32_e32 v7, 16, v7
	v_lshl_or_b32 v8, v8, 9, 0x7c00
	v_lshrrev_b32_e32 v5, 16, v5
	v_or_b32_e32 v12, v27, v12
	v_cndmask_b32_e64 v14, 0, 1, vcc_lo
	v_cmp_ne_u32_e32 vcc_lo, v16, v24
	v_lshrrev_b32_e32 v9, 16, v9
	v_or_b32_e32 v14, v28, v14
	v_cndmask_b32_e64 v16, 0, 1, vcc_lo
	v_cmp_gt_i32_e32 vcc_lo, 1, v11
	v_or_b32_e32 v16, v29, v16
	v_cndmask_b32_e32 v10, v19, v10, vcc_lo
	v_cmp_gt_i32_e32 vcc_lo, 1, v13
	v_and_b32_e32 v18, 7, v10
	v_cndmask_b32_e32 v12, v21, v12, vcc_lo
	v_cmp_gt_i32_e32 vcc_lo, 1, v15
	v_lshrrev_b32_e32 v10, 2, v10
	v_cmp_eq_u32_e64 s0, 3, v18
	v_and_b32_e32 v19, 7, v12
	v_cndmask_b32_e32 v14, v23, v14, vcc_lo
	v_cmp_gt_i32_e32 vcc_lo, 1, v17
	v_lshrrev_b32_e32 v12, 2, v12
	v_cmp_lt_i32_e64 s1, 5, v19
	v_and_b32_e32 v20, 7, v14
	v_cndmask_b32_e32 v16, v25, v16, vcc_lo
	v_cmp_lt_i32_e32 vcc_lo, 5, v18
	v_cmp_eq_u32_e64 s2, 3, v19
	v_lshrrev_b32_e32 v14, 2, v14
	v_cmp_lt_i32_e64 s3, 5, v20
	v_and_b32_e32 v21, 7, v16
	s_or_b32 vcc_lo, s0, vcc_lo
	v_cmp_eq_u32_e64 s4, 3, v20
	v_add_co_ci_u32_e32 v10, vcc_lo, 0, v10, vcc_lo
	s_or_b32 vcc_lo, s2, s1
	v_cmp_lt_i32_e64 s5, 5, v21
	v_cmp_eq_u32_e64 s6, 3, v21
	v_add_co_ci_u32_e32 v12, vcc_lo, 0, v12, vcc_lo
	v_lshrrev_b32_e32 v16, 2, v16
	s_or_b32 vcc_lo, s4, s3
	v_add_co_ci_u32_e32 v14, vcc_lo, 0, v14, vcc_lo
	s_or_b32 vcc_lo, s6, s5
	v_add_co_ci_u32_e32 v16, vcc_lo, 0, v16, vcc_lo
	v_cmp_gt_i32_e32 vcc_lo, 31, v11
	v_cndmask_b32_e32 v10, 0x7c00, v10, vcc_lo
	v_cmp_gt_i32_e32 vcc_lo, 31, v13
	v_cndmask_b32_e32 v12, 0x7c00, v12, vcc_lo
	;; [unrolled: 2-line block ×4, first 2 shown]
	v_cmp_eq_u32_e32 vcc_lo, 0x40f, v11
	v_cndmask_b32_e32 v2, v10, v2, vcc_lo
	v_cmp_eq_u32_e32 vcc_lo, 0x40f, v15
	v_and_or_b32 v2, 0x8000, v3, v2
	v_cndmask_b32_e32 v6, v14, v6, vcc_lo
	v_cmp_eq_u32_e32 vcc_lo, 0x40f, v13
	v_and_or_b32 v3, 0x8000, v7, v6
	v_cndmask_b32_e32 v4, v12, v4, vcc_lo
	v_cmp_eq_u32_e32 vcc_lo, 0x40f, v17
	v_and_b32_e32 v6, 0xffff, v2
	v_and_b32_e32 v7, 0xffff, v3
	v_and_or_b32 v4, 0x8000, v5, v4
	v_cndmask_b32_e32 v8, v16, v8, vcc_lo
	v_add_co_u32 v0, vcc_lo, v0, s8
	v_add_co_ci_u32_e32 v1, vcc_lo, s9, v1, vcc_lo
	v_and_or_b32 v5, 0x8000, v9, v8
	v_add_co_u32 v2, vcc_lo, v0, s10
	v_lshl_or_b32 v4, v4, 16, v6
	v_add_co_ci_u32_e32 v3, vcc_lo, s11, v1, vcc_lo
	v_lshl_or_b32 v5, v5, 16, v7
	global_store_dword v[0:1], v4, off
	global_store_dword v[2:3], v5, off
.LBB0_31:
	s_endpgm
	.section	.rodata,"a",@progbits
	.p2align	6, 0x0
	.amdhsa_kernel bluestein_single_fwd_len1470_dim1_half_op_CI_CI
		.amdhsa_group_segment_fixed_size 5880
		.amdhsa_private_segment_fixed_size 0
		.amdhsa_kernarg_size 104
		.amdhsa_user_sgpr_count 6
		.amdhsa_user_sgpr_private_segment_buffer 1
		.amdhsa_user_sgpr_dispatch_ptr 0
		.amdhsa_user_sgpr_queue_ptr 0
		.amdhsa_user_sgpr_kernarg_segment_ptr 1
		.amdhsa_user_sgpr_dispatch_id 0
		.amdhsa_user_sgpr_flat_scratch_init 0
		.amdhsa_user_sgpr_private_segment_size 0
		.amdhsa_wavefront_size32 1
		.amdhsa_uses_dynamic_stack 0
		.amdhsa_system_sgpr_private_segment_wavefront_offset 0
		.amdhsa_system_sgpr_workgroup_id_x 1
		.amdhsa_system_sgpr_workgroup_id_y 0
		.amdhsa_system_sgpr_workgroup_id_z 0
		.amdhsa_system_sgpr_workgroup_info 0
		.amdhsa_system_vgpr_workitem_id 0
		.amdhsa_next_free_vgpr 86
		.amdhsa_next_free_sgpr 16
		.amdhsa_reserve_vcc 1
		.amdhsa_reserve_flat_scratch 0
		.amdhsa_float_round_mode_32 0
		.amdhsa_float_round_mode_16_64 0
		.amdhsa_float_denorm_mode_32 3
		.amdhsa_float_denorm_mode_16_64 3
		.amdhsa_dx10_clamp 1
		.amdhsa_ieee_mode 1
		.amdhsa_fp16_overflow 0
		.amdhsa_workgroup_processor_mode 1
		.amdhsa_memory_ordered 1
		.amdhsa_forward_progress 0
		.amdhsa_shared_vgpr_count 0
		.amdhsa_exception_fp_ieee_invalid_op 0
		.amdhsa_exception_fp_denorm_src 0
		.amdhsa_exception_fp_ieee_div_zero 0
		.amdhsa_exception_fp_ieee_overflow 0
		.amdhsa_exception_fp_ieee_underflow 0
		.amdhsa_exception_fp_ieee_inexact 0
		.amdhsa_exception_int_div_zero 0
	.end_amdhsa_kernel
	.text
.Lfunc_end0:
	.size	bluestein_single_fwd_len1470_dim1_half_op_CI_CI, .Lfunc_end0-bluestein_single_fwd_len1470_dim1_half_op_CI_CI
                                        ; -- End function
	.section	.AMDGPU.csdata,"",@progbits
; Kernel info:
; codeLenInByte = 14852
; NumSgprs: 18
; NumVgprs: 86
; ScratchSize: 0
; MemoryBound: 0
; FloatMode: 240
; IeeeMode: 1
; LDSByteSize: 5880 bytes/workgroup (compile time only)
; SGPRBlocks: 2
; VGPRBlocks: 10
; NumSGPRsForWavesPerEU: 18
; NumVGPRsForWavesPerEU: 86
; Occupancy: 10
; WaveLimiterHint : 1
; COMPUTE_PGM_RSRC2:SCRATCH_EN: 0
; COMPUTE_PGM_RSRC2:USER_SGPR: 6
; COMPUTE_PGM_RSRC2:TRAP_HANDLER: 0
; COMPUTE_PGM_RSRC2:TGID_X_EN: 1
; COMPUTE_PGM_RSRC2:TGID_Y_EN: 0
; COMPUTE_PGM_RSRC2:TGID_Z_EN: 0
; COMPUTE_PGM_RSRC2:TIDIG_COMP_CNT: 0
	.text
	.p2alignl 6, 3214868480
	.fill 48, 4, 3214868480
	.type	__hip_cuid_abce0f60dad5e365,@object ; @__hip_cuid_abce0f60dad5e365
	.section	.bss,"aw",@nobits
	.globl	__hip_cuid_abce0f60dad5e365
__hip_cuid_abce0f60dad5e365:
	.byte	0                               ; 0x0
	.size	__hip_cuid_abce0f60dad5e365, 1

	.ident	"AMD clang version 19.0.0git (https://github.com/RadeonOpenCompute/llvm-project roc-6.4.0 25133 c7fe45cf4b819c5991fe208aaa96edf142730f1d)"
	.section	".note.GNU-stack","",@progbits
	.addrsig
	.addrsig_sym __hip_cuid_abce0f60dad5e365
	.amdgpu_metadata
---
amdhsa.kernels:
  - .args:
      - .actual_access:  read_only
        .address_space:  global
        .offset:         0
        .size:           8
        .value_kind:     global_buffer
      - .actual_access:  read_only
        .address_space:  global
        .offset:         8
        .size:           8
        .value_kind:     global_buffer
      - .actual_access:  read_only
        .address_space:  global
        .offset:         16
        .size:           8
        .value_kind:     global_buffer
      - .actual_access:  read_only
        .address_space:  global
        .offset:         24
        .size:           8
        .value_kind:     global_buffer
      - .actual_access:  read_only
        .address_space:  global
        .offset:         32
        .size:           8
        .value_kind:     global_buffer
      - .offset:         40
        .size:           8
        .value_kind:     by_value
      - .address_space:  global
        .offset:         48
        .size:           8
        .value_kind:     global_buffer
      - .address_space:  global
        .offset:         56
        .size:           8
        .value_kind:     global_buffer
      - .address_space:  global
        .offset:         64
        .size:           8
        .value_kind:     global_buffer
      - .address_space:  global
        .offset:         72
        .size:           8
        .value_kind:     global_buffer
      - .offset:         80
        .size:           4
        .value_kind:     by_value
      - .address_space:  global
        .offset:         88
        .size:           8
        .value_kind:     global_buffer
      - .address_space:  global
        .offset:         96
        .size:           8
        .value_kind:     global_buffer
    .group_segment_fixed_size: 5880
    .kernarg_segment_align: 8
    .kernarg_segment_size: 104
    .language:       OpenCL C
    .language_version:
      - 2
      - 0
    .max_flat_workgroup_size: 210
    .name:           bluestein_single_fwd_len1470_dim1_half_op_CI_CI
    .private_segment_fixed_size: 0
    .sgpr_count:     18
    .sgpr_spill_count: 0
    .symbol:         bluestein_single_fwd_len1470_dim1_half_op_CI_CI.kd
    .uniform_work_group_size: 1
    .uses_dynamic_stack: false
    .vgpr_count:     86
    .vgpr_spill_count: 0
    .wavefront_size: 32
    .workgroup_processor_mode: 1
amdhsa.target:   amdgcn-amd-amdhsa--gfx1030
amdhsa.version:
  - 1
  - 2
...

	.end_amdgpu_metadata
